;; amdgpu-corpus repo=ROCm/rocFFT kind=compiled arch=gfx1030 opt=O3
	.text
	.amdgcn_target "amdgcn-amd-amdhsa--gfx1030"
	.amdhsa_code_object_version 6
	.protected	fft_rtc_fwd_len612_factors_17_3_6_2_wgs_51_tpt_51_halfLds_half_op_CI_CI_unitstride_sbrr_R2C_dirReg ; -- Begin function fft_rtc_fwd_len612_factors_17_3_6_2_wgs_51_tpt_51_halfLds_half_op_CI_CI_unitstride_sbrr_R2C_dirReg
	.globl	fft_rtc_fwd_len612_factors_17_3_6_2_wgs_51_tpt_51_halfLds_half_op_CI_CI_unitstride_sbrr_R2C_dirReg
	.p2align	8
	.type	fft_rtc_fwd_len612_factors_17_3_6_2_wgs_51_tpt_51_halfLds_half_op_CI_CI_unitstride_sbrr_R2C_dirReg,@function
fft_rtc_fwd_len612_factors_17_3_6_2_wgs_51_tpt_51_halfLds_half_op_CI_CI_unitstride_sbrr_R2C_dirReg: ; @fft_rtc_fwd_len612_factors_17_3_6_2_wgs_51_tpt_51_halfLds_half_op_CI_CI_unitstride_sbrr_R2C_dirReg
; %bb.0:
	s_clause 0x2
	s_load_dwordx4 s[12:15], s[4:5], 0x0
	s_load_dwordx4 s[8:11], s[4:5], 0x58
	;; [unrolled: 1-line block ×3, first 2 shown]
	v_mul_u32_u24_e32 v1, 0x506, v0
	v_mov_b32_e32 v3, 0
	v_mov_b32_e32 v7, 0
	;; [unrolled: 1-line block ×3, first 2 shown]
	v_add_nc_u32_sdwa v9, s6, v1 dst_sel:DWORD dst_unused:UNUSED_PAD src0_sel:DWORD src1_sel:WORD_1
	v_mov_b32_e32 v10, v3
	s_waitcnt lgkmcnt(0)
	v_cmp_lt_u64_e64 s0, s[14:15], 2
	s_and_b32 vcc_lo, exec_lo, s0
	s_cbranch_vccnz .LBB0_8
; %bb.1:
	s_load_dwordx2 s[0:1], s[4:5], 0x10
	v_mov_b32_e32 v7, 0
	v_mov_b32_e32 v8, 0
	s_add_u32 s2, s18, 8
	s_addc_u32 s3, s19, 0
	v_mov_b32_e32 v1, v7
	s_add_u32 s6, s16, 8
	v_mov_b32_e32 v2, v8
	s_addc_u32 s7, s17, 0
	s_mov_b64 s[22:23], 1
	s_waitcnt lgkmcnt(0)
	s_add_u32 s20, s0, 8
	s_addc_u32 s21, s1, 0
.LBB0_2:                                ; =>This Inner Loop Header: Depth=1
	s_load_dwordx2 s[24:25], s[20:21], 0x0
                                        ; implicit-def: $vgpr5_vgpr6
	s_mov_b32 s0, exec_lo
	s_waitcnt lgkmcnt(0)
	v_or_b32_e32 v4, s25, v10
	v_cmpx_ne_u64_e32 0, v[3:4]
	s_xor_b32 s1, exec_lo, s0
	s_cbranch_execz .LBB0_4
; %bb.3:                                ;   in Loop: Header=BB0_2 Depth=1
	v_cvt_f32_u32_e32 v4, s24
	v_cvt_f32_u32_e32 v5, s25
	s_sub_u32 s0, 0, s24
	s_subb_u32 s26, 0, s25
	v_fmac_f32_e32 v4, 0x4f800000, v5
	v_rcp_f32_e32 v4, v4
	v_mul_f32_e32 v4, 0x5f7ffffc, v4
	v_mul_f32_e32 v5, 0x2f800000, v4
	v_trunc_f32_e32 v5, v5
	v_fmac_f32_e32 v4, 0xcf800000, v5
	v_cvt_u32_f32_e32 v5, v5
	v_cvt_u32_f32_e32 v4, v4
	v_mul_lo_u32 v6, s0, v5
	v_mul_hi_u32 v11, s0, v4
	v_mul_lo_u32 v12, s26, v4
	v_add_nc_u32_e32 v6, v11, v6
	v_mul_lo_u32 v11, s0, v4
	v_add_nc_u32_e32 v6, v6, v12
	v_mul_hi_u32 v12, v4, v11
	v_mul_lo_u32 v13, v4, v6
	v_mul_hi_u32 v14, v4, v6
	v_mul_hi_u32 v15, v5, v11
	v_mul_lo_u32 v11, v5, v11
	v_mul_hi_u32 v16, v5, v6
	v_mul_lo_u32 v6, v5, v6
	v_add_co_u32 v12, vcc_lo, v12, v13
	v_add_co_ci_u32_e32 v13, vcc_lo, 0, v14, vcc_lo
	v_add_co_u32 v11, vcc_lo, v12, v11
	v_add_co_ci_u32_e32 v11, vcc_lo, v13, v15, vcc_lo
	v_add_co_ci_u32_e32 v12, vcc_lo, 0, v16, vcc_lo
	v_add_co_u32 v6, vcc_lo, v11, v6
	v_add_co_ci_u32_e32 v11, vcc_lo, 0, v12, vcc_lo
	v_add_co_u32 v4, vcc_lo, v4, v6
	v_add_co_ci_u32_e32 v5, vcc_lo, v5, v11, vcc_lo
	v_mul_hi_u32 v6, s0, v4
	v_mul_lo_u32 v12, s26, v4
	v_mul_lo_u32 v11, s0, v5
	v_add_nc_u32_e32 v6, v6, v11
	v_mul_lo_u32 v11, s0, v4
	v_add_nc_u32_e32 v6, v6, v12
	v_mul_hi_u32 v12, v4, v11
	v_mul_lo_u32 v13, v4, v6
	v_mul_hi_u32 v14, v4, v6
	v_mul_hi_u32 v15, v5, v11
	v_mul_lo_u32 v11, v5, v11
	v_mul_hi_u32 v16, v5, v6
	v_mul_lo_u32 v6, v5, v6
	v_add_co_u32 v12, vcc_lo, v12, v13
	v_add_co_ci_u32_e32 v13, vcc_lo, 0, v14, vcc_lo
	v_add_co_u32 v11, vcc_lo, v12, v11
	v_add_co_ci_u32_e32 v11, vcc_lo, v13, v15, vcc_lo
	v_add_co_ci_u32_e32 v12, vcc_lo, 0, v16, vcc_lo
	v_add_co_u32 v6, vcc_lo, v11, v6
	v_add_co_ci_u32_e32 v11, vcc_lo, 0, v12, vcc_lo
	v_add_co_u32 v6, vcc_lo, v4, v6
	v_add_co_ci_u32_e32 v13, vcc_lo, v5, v11, vcc_lo
	v_mul_hi_u32 v15, v9, v6
	v_mad_u64_u32 v[11:12], null, v10, v6, 0
	v_mad_u64_u32 v[4:5], null, v9, v13, 0
	;; [unrolled: 1-line block ×3, first 2 shown]
	v_add_co_u32 v4, vcc_lo, v15, v4
	v_add_co_ci_u32_e32 v5, vcc_lo, 0, v5, vcc_lo
	v_add_co_u32 v4, vcc_lo, v4, v11
	v_add_co_ci_u32_e32 v4, vcc_lo, v5, v12, vcc_lo
	v_add_co_ci_u32_e32 v5, vcc_lo, 0, v14, vcc_lo
	v_add_co_u32 v11, vcc_lo, v4, v13
	v_add_co_ci_u32_e32 v6, vcc_lo, 0, v5, vcc_lo
	v_mul_lo_u32 v12, s25, v11
	v_mad_u64_u32 v[4:5], null, s24, v11, 0
	v_mul_lo_u32 v13, s24, v6
	v_sub_co_u32 v4, vcc_lo, v9, v4
	v_add3_u32 v5, v5, v13, v12
	v_sub_nc_u32_e32 v12, v10, v5
	v_subrev_co_ci_u32_e64 v12, s0, s25, v12, vcc_lo
	v_add_co_u32 v13, s0, v11, 2
	v_add_co_ci_u32_e64 v14, s0, 0, v6, s0
	v_sub_co_u32 v15, s0, v4, s24
	v_sub_co_ci_u32_e32 v5, vcc_lo, v10, v5, vcc_lo
	v_subrev_co_ci_u32_e64 v12, s0, 0, v12, s0
	v_cmp_le_u32_e32 vcc_lo, s24, v15
	v_cmp_eq_u32_e64 s0, s25, v5
	v_cndmask_b32_e64 v15, 0, -1, vcc_lo
	v_cmp_le_u32_e32 vcc_lo, s25, v12
	v_cndmask_b32_e64 v16, 0, -1, vcc_lo
	v_cmp_le_u32_e32 vcc_lo, s24, v4
	;; [unrolled: 2-line block ×3, first 2 shown]
	v_cndmask_b32_e64 v17, 0, -1, vcc_lo
	v_cmp_eq_u32_e32 vcc_lo, s25, v12
	v_cndmask_b32_e64 v4, v17, v4, s0
	v_cndmask_b32_e32 v12, v16, v15, vcc_lo
	v_add_co_u32 v15, vcc_lo, v11, 1
	v_add_co_ci_u32_e32 v16, vcc_lo, 0, v6, vcc_lo
	v_cmp_ne_u32_e32 vcc_lo, 0, v12
	v_cndmask_b32_e32 v5, v16, v14, vcc_lo
	v_cndmask_b32_e32 v12, v15, v13, vcc_lo
	v_cmp_ne_u32_e32 vcc_lo, 0, v4
	v_cndmask_b32_e32 v6, v6, v5, vcc_lo
	v_cndmask_b32_e32 v5, v11, v12, vcc_lo
.LBB0_4:                                ;   in Loop: Header=BB0_2 Depth=1
	s_andn2_saveexec_b32 s0, s1
	s_cbranch_execz .LBB0_6
; %bb.5:                                ;   in Loop: Header=BB0_2 Depth=1
	v_cvt_f32_u32_e32 v4, s24
	s_sub_i32 s1, 0, s24
	v_rcp_iflag_f32_e32 v4, v4
	v_mul_f32_e32 v4, 0x4f7ffffe, v4
	v_cvt_u32_f32_e32 v4, v4
	v_mul_lo_u32 v5, s1, v4
	v_mul_hi_u32 v5, v4, v5
	v_add_nc_u32_e32 v4, v4, v5
	v_mul_hi_u32 v4, v9, v4
	v_mul_lo_u32 v5, v4, s24
	v_add_nc_u32_e32 v6, 1, v4
	v_sub_nc_u32_e32 v5, v9, v5
	v_subrev_nc_u32_e32 v11, s24, v5
	v_cmp_le_u32_e32 vcc_lo, s24, v5
	v_cndmask_b32_e32 v5, v5, v11, vcc_lo
	v_cndmask_b32_e32 v4, v4, v6, vcc_lo
	v_cmp_le_u32_e32 vcc_lo, s24, v5
	v_add_nc_u32_e32 v6, 1, v4
	v_cndmask_b32_e32 v5, v4, v6, vcc_lo
	v_mov_b32_e32 v6, v3
.LBB0_6:                                ;   in Loop: Header=BB0_2 Depth=1
	s_or_b32 exec_lo, exec_lo, s0
	v_mul_lo_u32 v4, v6, s24
	v_mul_lo_u32 v13, v5, s25
	s_load_dwordx2 s[0:1], s[6:7], 0x0
	v_mad_u64_u32 v[11:12], null, v5, s24, 0
	s_load_dwordx2 s[24:25], s[2:3], 0x0
	s_add_u32 s22, s22, 1
	s_addc_u32 s23, s23, 0
	s_add_u32 s2, s2, 8
	s_addc_u32 s3, s3, 0
	s_add_u32 s6, s6, 8
	v_add3_u32 v4, v12, v13, v4
	v_sub_co_u32 v9, vcc_lo, v9, v11
	s_addc_u32 s7, s7, 0
	s_add_u32 s20, s20, 8
	v_sub_co_ci_u32_e32 v4, vcc_lo, v10, v4, vcc_lo
	s_addc_u32 s21, s21, 0
	s_waitcnt lgkmcnt(0)
	v_mul_lo_u32 v10, s0, v4
	v_mul_lo_u32 v11, s1, v9
	v_mad_u64_u32 v[7:8], null, s0, v9, v[7:8]
	v_mul_lo_u32 v4, s24, v4
	v_mul_lo_u32 v12, s25, v9
	v_mad_u64_u32 v[1:2], null, s24, v9, v[1:2]
	v_cmp_ge_u64_e64 s0, s[22:23], s[14:15]
	v_add3_u32 v8, v11, v8, v10
	v_add3_u32 v2, v12, v2, v4
	s_and_b32 vcc_lo, exec_lo, s0
	s_cbranch_vccnz .LBB0_9
; %bb.7:                                ;   in Loop: Header=BB0_2 Depth=1
	v_mov_b32_e32 v10, v6
	v_mov_b32_e32 v9, v5
	s_branch .LBB0_2
.LBB0_8:
	v_mov_b32_e32 v1, v7
	v_mov_b32_e32 v5, v9
	;; [unrolled: 1-line block ×4, first 2 shown]
.LBB0_9:
	s_load_dwordx2 s[0:1], s[4:5], 0x28
	v_mul_hi_u32 v4, 0x5050506, v0
	s_lshl_b64 s[4:5], s[14:15], 3
                                        ; implicit-def: $vgpr3
	s_add_u32 s2, s18, s4
	s_addc_u32 s3, s19, s5
	s_waitcnt lgkmcnt(0)
	v_cmp_gt_u64_e32 vcc_lo, s[0:1], v[5:6]
	v_cmp_le_u64_e64 s0, s[0:1], v[5:6]
	s_and_saveexec_b32 s1, s0
	s_xor_b32 s0, exec_lo, s1
; %bb.10:
	v_mul_u32_u24_e32 v3, 51, v4
                                        ; implicit-def: $vgpr4
                                        ; implicit-def: $vgpr7_vgpr8
	v_sub_nc_u32_e32 v3, v0, v3
                                        ; implicit-def: $vgpr0
; %bb.11:
	s_andn2_saveexec_b32 s1, s0
	s_cbranch_execz .LBB0_13
; %bb.12:
	s_add_u32 s4, s16, s4
	s_addc_u32 s5, s17, s5
	v_lshlrev_b64 v[7:8], 2, v[7:8]
	s_load_dwordx2 s[4:5], s[4:5], 0x0
	s_waitcnt lgkmcnt(0)
	v_mul_lo_u32 v3, s5, v5
	v_mul_lo_u32 v11, s4, v6
	v_mad_u64_u32 v[9:10], null, s4, v5, 0
	v_add3_u32 v10, v10, v11, v3
	v_mul_u32_u24_e32 v3, 51, v4
	v_lshlrev_b64 v[9:10], 2, v[9:10]
	v_sub_nc_u32_e32 v3, v0, v3
	v_lshlrev_b32_e32 v11, 2, v3
	v_add_co_u32 v0, s0, s8, v9
	v_add_co_ci_u32_e64 v4, s0, s9, v10, s0
	v_add_co_u32 v0, s0, v0, v7
	v_add_co_ci_u32_e64 v4, s0, v4, v8, s0
	;; [unrolled: 2-line block ×4, first 2 shown]
	s_clause 0xb
	global_load_dword v0, v[7:8], off
	global_load_dword v4, v[7:8], off offset:204
	global_load_dword v12, v[7:8], off offset:408
	;; [unrolled: 1-line block ×11, first 2 shown]
	v_add_nc_u32_e32 v9, 0, v11
	v_add_nc_u32_e32 v10, 0x400, v9
	s_waitcnt vmcnt(10)
	ds_write2_b32 v9, v0, v4 offset1:51
	v_add_nc_u32_e32 v0, 0x600, v9
	s_waitcnt vmcnt(8)
	ds_write2_b32 v9, v12, v13 offset0:102 offset1:153
	s_waitcnt vmcnt(6)
	ds_write2_b32 v9, v14, v15 offset0:204 offset1:255
	s_waitcnt vmcnt(4)
	ds_write2_b32 v10, v16, v17 offset0:50 offset1:101
	s_waitcnt vmcnt(2)
	ds_write2_b32 v10, v18, v19 offset0:152 offset1:203
	s_waitcnt vmcnt(0)
	ds_write2_b32 v0, v7, v8 offset0:126 offset1:177
.LBB0_13:
	s_or_b32 exec_lo, exec_lo, s1
	v_lshl_add_u32 v0, v3, 2, 0
	s_waitcnt lgkmcnt(0)
	s_barrier
	buffer_gl0_inv
	s_mov_b32 s1, exec_lo
	v_add_nc_u32_e32 v23, 0x400, v0
	v_add_nc_u32_e32 v24, 0x600, v0
	ds_read2_b32 v[7:8], v0 offset1:36
	ds_read2_b32 v[21:22], v0 offset0:72 offset1:108
	ds_read2_b32 v[19:20], v0 offset0:144 offset1:180
	;; [unrolled: 1-line block ×7, first 2 shown]
	ds_read_b32 v39, v0 offset:2304
	s_waitcnt lgkmcnt(0)
	s_barrier
	buffer_gl0_inv
	v_cmpx_gt_u32_e32 36, v3
	s_cbranch_execz .LBB0_15
; %bb.14:
	v_pk_add_f16 v25, v7, v8
	v_pk_add_f16 v34, v39, v8
	v_pk_add_f16 v4, v8, v39 neg_lo:[0,1] neg_hi:[0,1]
	v_pk_add_f16 v33, v12, v21
	v_pk_add_f16 v8, v21, v12 neg_lo:[0,1] neg_hi:[0,1]
	v_pk_add_f16 v26, v25, v21
	v_pk_add_f16 v27, v11, v22
	v_pk_add_f16 v21, v22, v11 neg_lo:[0,1] neg_hi:[0,1]
	v_pk_add_f16 v29, v13, v20
	v_pk_add_f16 v30, v16, v17
	;; [unrolled: 1-line block ×3, first 2 shown]
	v_pk_add_f16 v22, v20, v13 neg_lo:[0,1] neg_hi:[0,1]
	v_pk_add_f16 v26, v17, v16 neg_lo:[0,1] neg_hi:[0,1]
	v_lshrrev_b32_e32 v38, 16, v34
	v_lshrrev_b32_e32 v37, 16, v33
	v_pk_add_f16 v35, v31, v19
	v_pk_add_f16 v28, v14, v19
	v_lshrrev_b32_e32 v36, 16, v27
	v_mul_f16_e32 v46, 0xb8d2, v38
	v_mul_f16_e32 v52, 0xb461, v37
	v_pk_add_f16 v20, v35, v20
	v_pk_add_f16 v25, v19, v14 neg_lo:[0,1] neg_hi:[0,1]
	v_pk_add_f16 v31, v15, v18
	v_fmamk_f16 v43, v4, 0x3a62, v46
	v_pk_add_f16 v19, v18, v15 neg_lo:[0,1] neg_hi:[0,1]
	v_pk_add_f16 v17, v20, v17
	v_mov_b32_e32 v42, 0xba62
	v_lshrrev_b32_e32 v35, 16, v28
	v_mul_f16_e32 v55, 0x3b76, v36
	v_fmamk_f16 v47, v8, 0xbbb2, v52
	v_pk_add_f16 v40, v17, v18
	v_add_f16_sdwa v43, v7, v43 dst_sel:DWORD dst_unused:UNUSED_PAD src0_sel:WORD_1 src1_sel:DWORD
	v_mov_b32_e32 v51, 0x3bb2
	v_lshrrev_b32_e32 v20, 16, v29
	v_mul_f16_sdwa v48, v4, v42 dst_sel:DWORD dst_unused:UNUSED_PAD src0_sel:WORD_1 src1_sel:DWORD
	v_pk_add_f16 v40, v40, v9
	v_fmamk_f16 v50, v21, 0x35c8, v55
	v_add_f16_e32 v43, v47, v43
	v_mov_b32_e32 v44, 0xb5c8
	v_lshrrev_b32_e32 v18, 16, v30
	v_pk_add_f16 v40, v40, v10
	v_mul_f16_sdwa v49, v8, v51 dst_sel:DWORD dst_unused:UNUSED_PAD src0_sel:WORD_1 src1_sel:DWORD
	v_mul_f16_e32 v56, 0x2de8, v20
	v_add_f16_e32 v43, v50, v43
	v_mov_b32_e32 v41, 0xb836
	v_pk_add_f16 v15, v40, v15
	v_mul_f16_e32 v40, 0xbacd, v35
	v_mul_f16_sdwa v53, v21, v44 dst_sel:DWORD dst_unused:UNUSED_PAD src0_sel:WORD_1 src1_sel:DWORD
	v_mul_f16_e32 v57, 0x39e9, v18
	v_fmamk_f16 v50, v22, 0xbbf7, v56
	v_pk_add_f16 v15, v15, v16
	v_fmamk_f16 v16, v34, 0xb8d2, v48
	v_fmamk_f16 v47, v25, 0x3836, v40
	v_mov_b32_e32 v45, 0x3bf7
	v_mul_f16_sdwa v58, v25, v41 dst_sel:DWORD dst_unused:UNUSED_PAD src0_sel:WORD_1 src1_sel:DWORD
	v_pk_add_f16 v13, v15, v13
	v_fmamk_f16 v15, v33, 0xb461, v49
	v_add_f16_e32 v16, v7, v16
	v_add_f16_e32 v43, v47, v43
	v_fmamk_f16 v47, v26, 0x3964, v57
	v_pk_add_f16 v13, v13, v14
	v_fmamk_f16 v14, v27, 0x3b76, v53
	v_add_f16_e32 v15, v15, v16
	v_add_f16_e32 v16, v50, v43
	v_mul_f16_sdwa v60, v22, v45 dst_sel:DWORD dst_unused:UNUSED_PAD src0_sel:WORD_1 src1_sel:DWORD
	v_pk_add_f16 v11, v13, v11
	v_pk_add_f16 v32, v10, v9
	v_add_f16_e32 v14, v14, v15
	v_add_f16_e32 v15, v47, v16
	v_mov_b32_e32 v47, 0xb964
	v_pk_add_f16 v11, v11, v12
	v_fmamk_f16 v12, v28, 0xbacd, v58
	v_lshrrev_b32_e32 v17, 16, v31
	v_mov_b32_e32 v43, 0xb1e1
	v_mul_f16_sdwa v61, v26, v47 dst_sel:DWORD dst_unused:UNUSED_PAD src0_sel:WORD_1 src1_sel:DWORD
	v_lshrrev_b32_e32 v13, 16, v32
	v_add_f16_e32 v12, v12, v14
	v_fmamk_f16 v14, v29, 0x2de8, v60
	v_mul_f16_e32 v59, 0xbbdd, v17
	v_pk_add_f16 v9, v9, v10 neg_lo:[0,1] neg_hi:[0,1]
	v_mul_f16_sdwa v63, v19, v43 dst_sel:DWORD dst_unused:UNUSED_PAD src0_sel:WORD_1 src1_sel:DWORD
	v_mul_f16_e32 v64, 0xbacd, v38
	v_add_f16_e32 v10, v14, v12
	v_fmamk_f16 v12, v30, 0x39e9, v61
	v_fmamk_f16 v16, v19, 0x31e1, v59
	v_mul_f16_e32 v62, 0x3722, v13
	v_fmamk_f16 v50, v31, 0xbbdd, v63
	v_fmamk_f16 v54, v4, 0x3836, v64
	v_add_f16_e32 v12, v12, v10
	v_mul_f16_e32 v65, 0x3722, v37
	v_mov_b32_e32 v14, 0x3b29
	v_add_f16_e32 v15, v16, v15
	v_fmamk_f16 v16, v9, 0xbb29, v62
	v_pk_add_f16 v10, v11, v39
	v_add_f16_e32 v12, v50, v12
	v_add_f16_sdwa v39, v7, v54 dst_sel:DWORD dst_unused:UNUSED_PAD src0_sel:WORD_1 src1_sel:DWORD
	v_fmamk_f16 v50, v8, 0xbb29, v65
	v_mul_f16_e32 v67, 0x2de8, v36
	v_mul_f16_sdwa v68, v4, v41 dst_sel:DWORD dst_unused:UNUSED_PAD src0_sel:WORD_1 src1_sel:DWORD
	v_mul_f16_sdwa v66, v9, v14 dst_sel:DWORD dst_unused:UNUSED_PAD src0_sel:WORD_1 src1_sel:DWORD
	v_add_f16_e32 v11, v16, v15
	v_add_f16_e32 v15, v50, v39
	v_fmamk_f16 v16, v21, 0x3bf7, v67
	v_fmamk_f16 v39, v34, 0xbacd, v68
	v_mul_f16_sdwa v69, v8, v14 dst_sel:DWORD dst_unused:UNUSED_PAD src0_sel:WORD_1 src1_sel:DWORD
	v_mov_b32_e32 v50, 0xbbf7
	v_fmamk_f16 v54, v32, 0x3722, v66
	v_add_f16_e32 v14, v16, v15
	v_mul_f16_e32 v16, 0xb8d2, v35
	v_add_f16_e32 v15, v7, v39
	v_fmamk_f16 v39, v33, 0x3722, v69
	v_mul_f16_sdwa v70, v21, v50 dst_sel:DWORD dst_unused:UNUSED_PAD src0_sel:WORD_1 src1_sel:DWORD
	v_mov_b32_e32 v71, 0x3a62
	v_add_f16_e32 v12, v54, v12
	v_fmamk_f16 v54, v25, 0xba62, v16
	v_mul_f16_e32 v72, 0x3b76, v20
	v_add_f16_e32 v15, v39, v15
	v_fmamk_f16 v39, v27, 0x2de8, v70
	v_mul_f16_sdwa v73, v25, v71 dst_sel:DWORD dst_unused:UNUSED_PAD src0_sel:WORD_1 src1_sel:DWORD
	v_add_f16_e32 v14, v54, v14
	v_fmamk_f16 v54, v22, 0x35c8, v72
	v_mul_f16_e32 v74, 0xbbdd, v18
	v_add_f16_e32 v15, v39, v15
	v_fmamk_f16 v39, v28, 0xb8d2, v73
	v_mul_f16_sdwa v75, v22, v44 dst_sel:DWORD dst_unused:UNUSED_PAD src0_sel:WORD_1 src1_sel:DWORD
	v_add_f16_e32 v14, v54, v14
	v_fmamk_f16 v54, v26, 0x31e1, v74
	v_mul_f16_sdwa v77, v26, v43 dst_sel:DWORD dst_unused:UNUSED_PAD src0_sel:WORD_1 src1_sel:DWORD
	v_add_f16_e32 v15, v39, v15
	v_fmamk_f16 v39, v29, 0x3b76, v75
	v_mov_b32_e32 v78, 0x3964
	v_add_f16_e32 v14, v54, v14
	v_mov_b32_e32 v54, 0xbbb2
	v_fmac_f16_e32 v64, 0xb836, v4
	v_add_f16_e32 v15, v39, v15
	v_fmamk_f16 v39, v30, 0xbbdd, v77
	v_mul_f16_sdwa v80, v19, v78 dst_sel:DWORD dst_unused:UNUSED_PAD src0_sel:WORD_1 src1_sel:DWORD
	v_mul_f16_sdwa v82, v9, v54 dst_sel:DWORD dst_unused:UNUSED_PAD src0_sel:WORD_1 src1_sel:DWORD
	v_add_f16_sdwa v64, v7, v64 dst_sel:DWORD dst_unused:UNUSED_PAD src0_sel:WORD_1 src1_sel:DWORD
	v_fmac_f16_e32 v65, 0x3b29, v8
	v_add_f16_e32 v15, v39, v15
	v_fmamk_f16 v39, v31, 0x39e9, v80
	v_fmac_f16_e32 v67, 0xbbf7, v21
	v_fmac_f16_e32 v46, 0xba62, v4
	v_add_f16_e32 v64, v65, v64
	v_fma_f16 v65, v34, 0xbacd, -v68
	v_add_f16_e32 v15, v39, v15
	v_fmamk_f16 v39, v32, 0xb461, v82
	v_fmac_f16_e32 v16, 0x3a62, v25
	v_add_f16_sdwa v46, v7, v46 dst_sel:DWORD dst_unused:UNUSED_PAD src0_sel:WORD_1 src1_sel:DWORD
	v_fmac_f16_e32 v52, 0x3bb2, v8
	v_fmac_f16_e32 v55, 0xb5c8, v21
	v_add_f16_e32 v15, v39, v15
	v_add_f16_e32 v39, v67, v64
	;; [unrolled: 1-line block ×3, first 2 shown]
	v_fma_f16 v65, v33, 0x3722, -v69
	v_add_f16_e32 v46, v52, v46
	v_fma_f16 v52, v28, 0xb8d2, -v73
	v_add_f16_e32 v16, v16, v39
	v_fmac_f16_e32 v40, 0xb836, v25
	v_add_f16_e32 v39, v65, v64
	v_fma_f16 v64, v27, 0x2de8, -v70
	v_add_f16_e32 v46, v55, v46
	v_fmac_f16_e32 v56, 0x3bf7, v22
	v_fma_f16 v48, v34, 0xb8d2, -v48
	v_mul_f16_e32 v55, 0xbbb2, v4
	v_add_f16_e32 v39, v64, v39
	v_add_f16_e32 v40, v40, v46
	v_fma_f16 v46, v30, 0xbbdd, -v77
	v_fmac_f16_e32 v57, 0xb964, v26
	v_fmac_f16_e32 v59, 0xb1e1, v19
	v_add_f16_e32 v39, v52, v39
	v_fma_f16 v52, v29, 0x3b76, -v75
	v_add_f16_e32 v40, v56, v40
	v_mul_f16_e32 v56, 0x3836, v8
	v_fmac_f16_e32 v62, 0x3b29, v9
	v_fmac_f16_e32 v72, 0xb5c8, v22
	v_add_f16_e32 v39, v52, v39
	v_fmamk_f16 v52, v38, 0xb461, v55
	v_add_f16_e32 v40, v57, v40
	v_mul_f16_e32 v57, 0x3964, v21
	v_mul_f16_e32 v76, 0x39e9, v17
	v_add_f16_e32 v39, v46, v39
	v_add_f16_e32 v46, v7, v48
	v_fma_f16 v48, v33, 0xb461, -v49
	v_fma_f16 v49, v31, 0x39e9, -v80
	v_add_f16_sdwa v52, v7, v52 dst_sel:DWORD dst_unused:UNUSED_PAD src0_sel:WORD_1 src1_sel:DWORD
	v_add_f16_e32 v40, v59, v40
	v_mul_f16_e32 v59, 0x3bf7, v26
	v_add_f16_e32 v46, v48, v46
	v_fma_f16 v48, v27, 0x3b76, -v53
	v_fmamk_f16 v53, v37, 0xbacd, v56
	v_add_f16_e32 v39, v49, v39
	v_add_f16_e32 v40, v62, v40
	v_mul_f16_sdwa v62, v4, v54 dst_sel:DWORD dst_unused:UNUSED_PAD src0_sel:WORD_1 src1_sel:DWORD
	v_add_f16_e32 v46, v48, v46
	v_fma_f16 v48, v28, 0xbacd, -v58
	v_add_f16_e32 v49, v53, v52
	v_fmamk_f16 v52, v36, 0x39e9, v57
	v_mul_f16_e32 v58, 0xbb29, v25
	v_fma_f16 v53, v32, 0xb461, -v82
	v_add_f16_e32 v46, v48, v46
	v_fma_f16 v48, v29, 0x2de8, -v60
	v_add_f16_e32 v49, v52, v49
	v_fmamk_f16 v52, v35, 0x3722, v58
	v_mul_f16_e32 v60, 0xb1e1, v22
	v_add_f16_e32 v39, v53, v39
	v_add_f16_e32 v46, v48, v46
	v_fma_f16 v48, v30, 0x39e9, -v61
	v_add_f16_e32 v49, v52, v49
	v_fmamk_f16 v52, v20, 0xbbdd, v60
	v_mul_f16_e32 v61, 0xb5c8, v19
	v_fma_f16 v53, v32, 0x3722, -v66
	v_add_f16_e32 v46, v48, v46
	v_fma_f16 v48, v31, 0xbbdd, -v63
	v_add_f16_e32 v49, v52, v49
	v_fmamk_f16 v52, v18, 0x2de8, v59
	v_fma_f16 v64, v34, 0xb461, -v62
	v_mul_f16_e32 v66, 0xbbf7, v4
	v_add_f16_e32 v46, v48, v46
	v_add_f16_e32 v16, v72, v16
	;; [unrolled: 1-line block ×3, first 2 shown]
	v_mov_b32_e32 v49, 0x3836
	v_fmamk_f16 v52, v17, 0x3b76, v61
	v_fmac_f16_e32 v74, 0xb1e1, v26
	v_mul_f16_sdwa v67, v21, v78 dst_sel:DWORD dst_unused:UNUSED_PAD src0_sel:WORD_1 src1_sel:DWORD
	v_mov_b32_e32 v68, 0xbb29
	v_mul_f16_sdwa v65, v8, v49 dst_sel:DWORD dst_unused:UNUSED_PAD src0_sel:WORD_1 src1_sel:DWORD
	v_add_f16_e32 v48, v52, v48
	v_add_f16_e32 v52, v7, v64
	v_fmamk_f16 v69, v38, 0x2de8, v66
	v_mul_f16_e32 v70, 0xb1e1, v8
	v_fma_f16 v64, v33, 0xbacd, -v65
	v_fmamk_f16 v79, v19, 0xb964, v76
	v_mul_f16_e32 v81, 0xb461, v13
	v_add_f16_e32 v16, v74, v16
	v_fmac_f16_e32 v76, 0x3964, v19
	v_add_f16_e32 v52, v64, v52
	v_fma_f16 v64, v27, 0x39e9, -v67
	v_mul_f16_sdwa v72, v25, v68 dst_sel:DWORD dst_unused:UNUSED_PAD src0_sel:WORD_1 src1_sel:DWORD
	v_add_f16_sdwa v69, v7, v69 dst_sel:DWORD dst_unused:UNUSED_PAD src0_sel:WORD_1 src1_sel:DWORD
	v_fmamk_f16 v73, v37, 0xbbdd, v70
	v_mul_f16_e32 v74, 0x3bb2, v21
	v_add_f16_e32 v14, v79, v14
	v_fmamk_f16 v79, v9, 0x3bb2, v81
	v_add_f16_e32 v16, v76, v16
	v_add_f16_e32 v52, v64, v52
	v_fma_f16 v64, v28, 0x3722, -v72
	v_mul_f16_sdwa v75, v22, v43 dst_sel:DWORD dst_unused:UNUSED_PAD src0_sel:WORD_1 src1_sel:DWORD
	v_add_f16_e32 v69, v73, v69
	v_fmamk_f16 v73, v36, 0xb461, v74
	v_mul_f16_e32 v76, 0x35c8, v25
	v_add_f16_e32 v14, v79, v14
	v_mul_f16_e32 v63, 0xba62, v9
	v_add_f16_e32 v52, v64, v52
	v_fma_f16 v64, v29, 0xbbdd, -v75
	v_mul_f16_sdwa v77, v26, v45 dst_sel:DWORD dst_unused:UNUSED_PAD src0_sel:WORD_1 src1_sel:DWORD
	v_add_f16_e32 v69, v73, v69
	v_fmamk_f16 v73, v35, 0x3b76, v76
	v_mul_f16_e32 v79, 0xbb29, v22
	v_fmac_f16_e32 v81, 0xbbb2, v9
	v_fmamk_f16 v49, v13, 0xb8d2, v63
	v_add_f16_e32 v45, v53, v46
	v_add_f16_e32 v52, v64, v52
	v_fma_f16 v53, v30, 0x2de8, -v77
	v_add_f16_e32 v64, v73, v69
	v_fmamk_f16 v69, v20, 0x3722, v79
	v_mul_f16_e32 v73, 0xb836, v26
	v_add_f16_e32 v16, v81, v16
	v_add_f16_e32 v46, v49, v48
	;; [unrolled: 1-line block ×4, first 2 shown]
	v_fmamk_f16 v52, v18, 0xbacd, v73
	v_mul_f16_e32 v64, 0x3a62, v19
	v_mul_f16_sdwa v81, v4, v50 dst_sel:DWORD dst_unused:UNUSED_PAD src0_sel:WORD_1 src1_sel:DWORD
	v_mul_f16_sdwa v83, v8, v43 dst_sel:DWORD dst_unused:UNUSED_PAD src0_sel:WORD_1 src1_sel:DWORD
	v_mul_f16_e32 v85, 0xbb29, v4
	v_add_f16_e32 v49, v52, v49
	v_fmamk_f16 v52, v17, 0xb8d2, v64
	v_fma_f16 v82, v34, 0x2de8, -v81
	v_mul_f16_sdwa v86, v21, v51 dst_sel:DWORD dst_unused:UNUSED_PAD src0_sel:WORD_1 src1_sel:DWORD
	v_mov_b32_e32 v87, 0x35c8
	v_fmamk_f16 v88, v38, 0x3722, v85
	v_add_f16_e32 v52, v52, v49
	v_add_f16_e32 v49, v7, v82
	v_fma_f16 v82, v33, 0xbbdd, -v83
	v_mul_f16_e32 v89, 0xba62, v8
	v_mul_f16_sdwa v87, v25, v87 dst_sel:DWORD dst_unused:UNUSED_PAD src0_sel:WORD_1 src1_sel:DWORD
	v_add_f16_sdwa v88, v7, v88 dst_sel:DWORD dst_unused:UNUSED_PAD src0_sel:WORD_1 src1_sel:DWORD
	v_mul_f16_e32 v91, 0x31e1, v21
	v_add_f16_e32 v49, v82, v49
	v_fma_f16 v82, v27, 0xb461, -v86
	v_fmamk_f16 v90, v37, 0xb8d2, v89
	v_mul_f16_sdwa v92, v22, v68 dst_sel:DWORD dst_unused:UNUSED_PAD src0_sel:WORD_1 src1_sel:DWORD
	v_mul_f16_e32 v93, 0x3bb2, v25
	v_mul_f16_sdwa v94, v26, v41 dst_sel:DWORD dst_unused:UNUSED_PAD src0_sel:WORD_1 src1_sel:DWORD
	v_add_f16_e32 v49, v82, v49
	v_fma_f16 v82, v28, 0x3b76, -v87
	v_add_f16_e32 v88, v90, v88
	v_fmamk_f16 v90, v36, 0xbbdd, v91
	v_mul_f16_sdwa v80, v19, v44 dst_sel:DWORD dst_unused:UNUSED_PAD src0_sel:WORD_1 src1_sel:DWORD
	v_mul_f16_e32 v95, 0x3964, v22
	v_add_f16_e32 v49, v82, v49
	v_fma_f16 v82, v29, 0x3722, -v92
	v_add_f16_e32 v88, v90, v88
	v_fmamk_f16 v90, v35, 0xb461, v93
	v_mul_f16_sdwa v71, v19, v71 dst_sel:DWORD dst_unused:UNUSED_PAD src0_sel:WORD_1 src1_sel:DWORD
	v_fma_f16 v53, v31, 0x3b76, -v80
	v_add_f16_e32 v49, v82, v49
	v_fma_f16 v82, v30, 0xbacd, -v94
	v_mul_f16_sdwa v69, v9, v42 dst_sel:DWORD dst_unused:UNUSED_PAD src0_sel:WORD_1 src1_sel:DWORD
	v_add_f16_e32 v88, v90, v88
	v_fmamk_f16 v90, v20, 0x39e9, v95
	v_mul_f16_e32 v96, 0xb5c8, v26
	v_add_f16_e32 v49, v82, v49
	v_fma_f16 v82, v31, 0xb8d2, -v71
	v_mul_f16_sdwa v97, v9, v78 dst_sel:DWORD dst_unused:UNUSED_PAD src0_sel:WORD_1 src1_sel:DWORD
	v_add_f16_e32 v48, v53, v48
	v_fma_f16 v53, v32, 0xb8d2, -v69
	v_mul_f16_e32 v84, 0x3964, v9
	v_add_f16_e32 v88, v90, v88
	v_fmamk_f16 v90, v18, 0x3b76, v96
	v_mul_f16_e32 v98, 0xbbf7, v19
	v_add_f16_e32 v82, v82, v49
	v_fma_f16 v100, v32, 0x39e9, -v97
	v_fmamk_f16 v99, v13, 0x39e9, v84
	v_add_f16_e32 v88, v90, v88
	v_fmamk_f16 v90, v17, 0x2de8, v98
	v_mul_f16_sdwa v101, v4, v68 dst_sel:DWORD dst_unused:UNUSED_PAD src0_sel:WORD_1 src1_sel:DWORD
	v_add_f16_e32 v49, v53, v48
	v_add_f16_e32 v53, v100, v82
	v_mul_f16_e32 v100, 0xb964, v4
	v_add_f16_e32 v52, v99, v52
	v_add_f16_e32 v82, v90, v88
	v_fma_f16 v88, v34, 0x3722, -v101
	v_mul_f16_sdwa v90, v8, v42 dst_sel:DWORD dst_unused:UNUSED_PAD src0_sel:WORD_1 src1_sel:DWORD
	v_mov_b32_e32 v99, 0x31e1
	v_fmamk_f16 v104, v38, 0x39e9, v100
	v_mul_f16_e32 v105, 0xbbf7, v8
	v_add_f16_e32 v88, v7, v88
	v_fma_f16 v102, v33, 0xb8d2, -v90
	v_mul_f16_sdwa v99, v21, v99 dst_sel:DWORD dst_unused:UNUSED_PAD src0_sel:WORD_1 src1_sel:DWORD
	v_add_f16_sdwa v104, v7, v104 dst_sel:DWORD dst_unused:UNUSED_PAD src0_sel:WORD_1 src1_sel:DWORD
	v_fmamk_f16 v106, v37, 0x2de8, v105
	v_mul_f16_e32 v107, 0xba62, v21
	v_add_f16_e32 v88, v102, v88
	v_fma_f16 v102, v27, 0xbbdd, -v99
	v_mul_f16_sdwa v51, v25, v51 dst_sel:DWORD dst_unused:UNUSED_PAD src0_sel:WORD_1 src1_sel:DWORD
	v_add_f16_e32 v104, v106, v104
	v_fmamk_f16 v106, v36, 0xb8d2, v107
	v_mul_f16_e32 v108, 0xb1e1, v25
	v_add_f16_e32 v88, v102, v88
	v_fma_f16 v102, v28, 0xb461, -v51
	v_mul_f16_sdwa v78, v22, v78 dst_sel:DWORD dst_unused:UNUSED_PAD src0_sel:WORD_1 src1_sel:DWORD
	v_add_f16_e32 v104, v106, v104
	v_fmamk_f16 v106, v35, 0xbbdd, v108
	v_mul_f16_e32 v48, 0xbacd, v13
	v_add_f16_e32 v88, v102, v88
	v_fma_f16 v102, v29, 0x39e9, -v78
	v_mul_f16_sdwa v109, v26, v44 dst_sel:DWORD dst_unused:UNUSED_PAD src0_sel:WORD_1 src1_sel:DWORD
	v_mul_f16_e32 v110, 0x3836, v22
	v_add_f16_e32 v104, v106, v104
	v_pk_mul_f16 v106, 0x3b7639e9, v34
	v_fmamk_f16 v103, v9, 0xb836, v48
	v_add_f16_e32 v88, v102, v88
	v_fma_f16 v102, v30, 0x3b76, -v109
	v_mul_f16_sdwa v111, v19, v50 dst_sel:DWORD dst_unused:UNUSED_PAD src0_sel:WORD_1 src1_sel:DWORD
	v_fmamk_f16 v112, v20, 0xbacd, v110
	v_pk_fma_f16 v114, 0xb964b5c8, v4, v106 op_sel:[0,0,1] op_sel_hi:[1,1,0]
	v_pk_mul_f16 v115, 0x39e92de8, v33
	v_pk_fma_f16 v106, 0xb964b5c8, v4, v106 op_sel:[0,0,1] op_sel_hi:[1,1,0] neg_lo:[0,1,0] neg_hi:[0,1,0]
	v_mul_f16_e32 v113, 0x3bb2, v26
	v_add_f16_e32 v88, v102, v88
	v_fma_f16 v102, v31, 0x2de8, -v111
	v_add_f16_e32 v82, v103, v82
	v_add_f16_e32 v103, v112, v104
	v_pk_fma_f16 v112, 0xbbf7b964, v8, v115 op_sel:[0,0,1] op_sel_hi:[1,1,0]
	v_bfi_b32 v116, 0xffff, v114, v106
	v_pk_fma_f16 v115, 0xbbf7b964, v8, v115 op_sel:[0,0,1] op_sel_hi:[1,1,0] neg_lo:[0,1,0] neg_hi:[0,1,0]
	v_pk_mul_f16 v117, 0x3722b8d2, v27
	v_fmamk_f16 v104, v18, 0xb461, v113
	v_add_f16_e32 v88, v102, v88
	v_pk_add_f16 v102, v7, v116 op_sel:[1,0] op_sel_hi:[0,1]
	v_bfi_b32 v116, 0xffff, v112, v115
	v_pk_fma_f16 v119, 0xba62bb29, v21, v117 op_sel:[0,0,1] op_sel_hi:[1,1,0]
	v_pk_fma_f16 v117, 0xba62bb29, v21, v117 op_sel:[0,0,1] op_sel_hi:[1,1,0] neg_lo:[0,1,0] neg_hi:[0,1,0]
	v_pk_mul_f16 v120, 0x2de8bbdd, v28
	v_add_f16_e32 v103, v104, v103
	v_pk_add_f16 v102, v116, v102
	v_pk_mul_f16 v122, 0xb461bacd, v29
	v_bfi_b32 v104, 0xffff, v119, v117
	v_pk_fma_f16 v116, 0xb1e1bbf7, v25, v120 op_sel:[0,0,1] op_sel_hi:[1,1,0]
	v_pk_fma_f16 v120, 0xb1e1bbf7, v25, v120 op_sel:[0,0,1] op_sel_hi:[1,1,0] neg_lo:[0,1,0] neg_hi:[0,1,0]
	v_mul_f16_e32 v118, 0x3b29, v19
	v_mul_f16_sdwa v121, v9, v41 dst_sel:DWORD dst_unused:UNUSED_PAD src0_sel:WORD_1 src1_sel:DWORD
	v_pk_add_f16 v102, v104, v102
	v_pk_fma_f16 v125, 0x3836bbb2, v22, v122 op_sel:[0,0,1] op_sel_hi:[1,1,0]
	v_bfi_b32 v104, 0xffff, v116, v120
	v_pk_fma_f16 v122, 0x3836bbb2, v22, v122 op_sel:[0,0,1] op_sel_hi:[1,1,0] neg_lo:[0,1,0] neg_hi:[0,1,0]
	v_fmamk_f16 v123, v17, 0x3722, v118
	v_mul_f16_e32 v124, 0x35c8, v9
	v_fma_f16 v126, v32, 0xbacd, -v121
	v_pk_add_f16 v102, v104, v102
	v_bfi_b32 v104, 0xffff, v125, v122
	v_mul_f16_sdwa v44, v4, v44 dst_sel:DWORD dst_unused:UNUSED_PAD src0_sel:WORD_1 src1_sel:DWORD
	v_fma_f16 v55, v38, 0xb461, -v55
	v_add_f16_e32 v103, v123, v103
	v_fmamk_f16 v123, v13, 0x3b76, v124
	v_add_f16_e32 v88, v126, v88
	v_pk_mul_f16 v126, 0xb8d2b461, v30
	v_pk_add_f16 v102, v104, v102
	v_fma_f16 v104, v34, 0x3b76, -v44
	v_mul_f16_sdwa v47, v8, v47 dst_sel:DWORD dst_unused:UNUSED_PAD src0_sel:WORD_1 src1_sel:DWORD
	v_add_f16_sdwa v55, v7, v55 dst_sel:DWORD dst_unused:UNUSED_PAD src0_sel:WORD_1 src1_sel:DWORD
	v_fma_f16 v56, v37, 0xbacd, -v56
	v_add_f16_e32 v103, v123, v103
	v_pk_fma_f16 v123, 0x3bb2ba62, v26, v126 op_sel:[0,0,1] op_sel_hi:[1,1,0]
	v_pk_fma_f16 v126, 0x3bb2ba62, v26, v126 op_sel:[0,0,1] op_sel_hi:[1,1,0] neg_lo:[0,1,0] neg_hi:[0,1,0]
	v_add_f16_e32 v104, v7, v104
	v_fma_f16 v128, v33, 0x39e9, -v47
	v_mul_f16_sdwa v68, v21, v68 dst_sel:DWORD dst_unused:UNUSED_PAD src0_sel:WORD_1 src1_sel:DWORD
	v_add_f16_e32 v55, v56, v55
	v_fma_f16 v56, v36, 0x39e9, -v57
	v_fmac_f16_e32 v62, 0xb461, v34
	v_pk_mul_f16 v127, 0xbacd3722, v31
	v_bfi_b32 v129, 0xffff, v123, v126
	v_add_f16_e32 v104, v128, v104
	v_fma_f16 v128, v27, 0x3722, -v68
	v_mul_f16_sdwa v50, v25, v50 dst_sel:DWORD dst_unused:UNUSED_PAD src0_sel:WORD_1 src1_sel:DWORD
	v_add_f16_e32 v55, v56, v55
	v_fma_f16 v56, v35, 0x3722, -v58
	v_add_f16_e32 v58, v7, v62
	v_fmac_f16_e32 v65, 0xbacd, v33
	v_pk_fma_f16 v130, 0x3b29b836, v19, v127 op_sel:[0,0,1] op_sel_hi:[1,1,0]
	v_pk_fma_f16 v127, 0x3b29b836, v19, v127 op_sel:[0,0,1] op_sel_hi:[1,1,0] neg_lo:[0,1,0] neg_hi:[0,1,0]
	v_pk_add_f16 v102, v129, v102
	v_pk_mul_f16 v129, 0xbbdd3b76, v32
	v_add_f16_e32 v104, v128, v104
	v_fma_f16 v128, v28, 0x2de8, -v50
	v_mul_f16_sdwa v54, v22, v54 dst_sel:DWORD dst_unused:UNUSED_PAD src0_sel:WORD_1 src1_sel:DWORD
	v_add_f16_e32 v55, v56, v55
	v_fma_f16 v56, v20, 0xbbdd, -v60
	v_add_f16_e32 v58, v65, v58
	v_fmac_f16_e32 v67, 0x39e9, v27
	v_fma_f16 v65, v38, 0x2de8, -v66
	v_bfi_b32 v131, 0xffff, v130, v127
	v_pk_fma_f16 v132, 0x35c8b1e1, v9, v129 op_sel:[0,0,1] op_sel_hi:[1,1,0]
	v_pk_fma_f16 v133, 0x35c8b1e1, v9, v129 op_sel:[0,0,1] op_sel_hi:[1,1,0] neg_lo:[0,1,0] neg_hi:[0,1,0]
	v_add_f16_e32 v104, v128, v104
	v_fma_f16 v128, v29, 0xb461, -v54
	v_mul_f16_sdwa v42, v26, v42 dst_sel:DWORD dst_unused:UNUSED_PAD src0_sel:WORD_1 src1_sel:DWORD
	v_add_f16_e32 v55, v56, v55
	v_add_f16_e32 v56, v67, v58
	v_fma_f16 v58, v18, 0x2de8, -v59
	v_add_f16_sdwa v59, v7, v65 dst_sel:DWORD dst_unused:UNUSED_PAD src0_sel:WORD_1 src1_sel:DWORD
	v_fma_f16 v65, v37, 0xbbdd, -v70
	v_pk_add_f16 v102, v131, v102
	v_bfi_b32 v131, 0xffff, v132, v133
	v_add_f16_e32 v104, v128, v104
	v_fma_f16 v128, v30, 0xb8d2, -v42
	v_mul_f16_sdwa v41, v19, v41 dst_sel:DWORD dst_unused:UNUSED_PAD src0_sel:WORD_1 src1_sel:DWORD
	v_add_f16_e32 v55, v58, v55
	v_add_f16_e32 v58, v65, v59
	v_fma_f16 v59, v17, 0x3b76, -v61
	v_fma_f16 v61, v36, 0xb461, -v74
	v_pk_add_f16 v57, v131, v102
	v_add_f16_e32 v102, v128, v104
	v_fma_f16 v62, v31, 0xbacd, -v41
	v_mul_f16_sdwa v43, v9, v43 dst_sel:DWORD dst_unused:UNUSED_PAD src0_sel:WORD_1 src1_sel:DWORD
	v_add_f16_e32 v55, v59, v55
	v_add_f16_e32 v58, v61, v58
	v_fma_f16 v59, v35, 0x3b76, -v76
	v_add_f16_e32 v60, v62, v102
	v_fma_f16 v62, v32, 0xbbdd, -v43
	v_fmac_f16_e32 v44, 0x3b76, v34
	v_fmac_f16_e32 v47, 0x39e9, v33
	v_add_f16_e32 v58, v59, v58
	v_fma_f16 v59, v20, 0x3722, -v79
	v_add_f16_e32 v60, v62, v60
	v_fma_f16 v62, v13, 0xb8d2, -v63
	v_fma_f16 v63, v37, 0xb8d2, -v89
	;; [unrolled: 1-line block ×3, first 2 shown]
	v_add_f16_e32 v58, v59, v58
	v_fma_f16 v59, v18, 0xbacd, -v73
	v_add_f16_e32 v55, v62, v55
	v_fma_f16 v62, v38, 0x3722, -v85
	v_fma_f16 v38, v38, 0x39e9, -v100
	v_add_f16_e32 v44, v7, v44
	v_add_f16_e32 v58, v59, v58
	v_fma_f16 v59, v17, 0xb8d2, -v64
	v_add_f16_sdwa v62, v7, v62 dst_sel:DWORD dst_unused:UNUSED_PAD src0_sel:WORD_1 src1_sel:DWORD
	v_add_f16_sdwa v38, v7, v38 dst_sel:DWORD dst_unused:UNUSED_PAD src0_sel:WORD_1 src1_sel:DWORD
	v_add_f16_e32 v44, v47, v44
	v_fmac_f16_e32 v68, 0x3722, v27
	v_add_f16_e32 v58, v59, v58
	v_fma_f16 v59, v13, 0x39e9, -v84
	v_add_f16_e32 v37, v37, v38
	v_fmac_f16_e32 v50, 0x2de8, v28
	v_add_f16_e32 v44, v68, v44
	v_fmac_f16_e32 v54, 0xb461, v29
	v_add_f16_e32 v58, v59, v58
	v_add_f16_e32 v59, v63, v62
	v_fma_f16 v62, v36, 0xbbdd, -v91
	v_fma_f16 v36, v36, 0xb8d2, -v107
	v_add_f16_e32 v44, v50, v44
	v_fmac_f16_e32 v42, 0xb8d2, v30
	v_fmac_f16_e32 v41, 0xbacd, v31
	v_add_f16_e32 v59, v62, v59
	v_fma_f16 v62, v35, 0xb461, -v93
	v_add_f16_e32 v36, v36, v37
	v_fma_f16 v35, v35, 0xbbdd, -v108
	v_add_f16_e32 v44, v54, v44
	v_fmac_f16_e32 v81, 0x2de8, v34
	v_add_f16_e32 v59, v62, v59
	v_fma_f16 v62, v20, 0x39e9, -v95
	v_add_f16_e32 v35, v35, v36
	v_add_f16_sdwa v36, v7, v106 dst_sel:DWORD dst_unused:UNUSED_PAD src0_sel:WORD_1 src1_sel:DWORD
	v_fma_f16 v20, v20, 0xbacd, -v110
	v_fmac_f16_e32 v101, 0x3722, v34
	v_add_f16_e32 v38, v62, v59
	v_fma_f16 v59, v18, 0x3b76, -v96
	v_add_f16_e32 v36, v115, v36
	v_add_f16_e32 v20, v20, v35
	v_fma_f16 v18, v18, 0xb461, -v113
	v_fma_f16 v13, v13, 0x3b76, -v124
	v_add_f16_e32 v38, v59, v38
	v_pk_add_f16 v59, v7, v114 op_sel:[1,0] op_sel_hi:[0,1]
	v_add_f16_e32 v35, v117, v36
	v_add_f16_e32 v18, v18, v20
	v_fma_f16 v20, v17, 0x2de8, -v98
	v_fma_f16 v17, v17, 0x3722, -v118
	v_pk_add_f16 v36, v112, v59
	v_add_f16_e32 v35, v120, v35
	v_fmac_f16_e32 v43, 0xbbdd, v32
	v_pk_mul_f16 v34, 0xbbdd, v34 op_sel_hi:[0,1]
	v_add_f16_e32 v17, v17, v18
	v_pk_add_f16 v36, v119, v36
	v_add_f16_e32 v35, v122, v35
	v_fmac_f16_e32 v83, 0xbbdd, v33
	v_fmac_f16_e32 v90, 0xb8d2, v33
	v_add_f16_e32 v13, v13, v17
	v_pk_add_f16 v18, v116, v36
	v_add_f16_e32 v35, v126, v35
	v_add_f16_e32 v36, v42, v44
	v_pk_mul_f16 v33, 0x3b76, v33 op_sel_hi:[0,1]
	v_add_f16_e32 v61, v7, v81
	v_pk_add_f16 v18, v125, v18
	v_add_f16_e32 v35, v127, v35
	v_add_f16_e32 v36, v41, v36
	v_fmac_f16_e32 v86, 0xb461, v27
	v_add_f16_e32 v64, v7, v101
	v_pk_add_f16 v17, v123, v18
	v_add_f16_e32 v18, v133, v35
	v_add_f16_e32 v35, v43, v36
	v_pk_fma_f16 v36, 0xb1e1, v4, v34 op_sel:[0,0,1] op_sel_hi:[0,1,0] neg_lo:[0,1,0] neg_hi:[0,1,0]
	v_pk_fma_f16 v4, 0xb1e1, v4, v34 op_sel:[0,0,1] op_sel_hi:[0,1,0]
	v_fmac_f16_e32 v99, 0xbbdd, v27
	v_pk_fma_f16 v50, 0x35c8, v8, v33 op_sel:[0,0,1] op_sel_hi:[0,1,0] neg_lo:[0,1,0] neg_hi:[0,1,0]
	v_pk_mul_f16 v27, 0xbacd, v27 op_sel_hi:[0,1]
	v_pk_add_f16 v36, v7, v36 op_sel:[1,0] op_sel_hi:[0,1]
	v_pk_add_f16 v4, v7, v4 op_sel:[1,0] op_sel_hi:[0,1]
	v_pk_fma_f16 v7, 0x35c8, v8, v33 op_sel:[0,0,1] op_sel_hi:[0,1,0]
	v_fmac_f16_e32 v72, 0x3722, v28
	v_fmac_f16_e32 v87, 0x3b76, v28
	;; [unrolled: 1-line block ×3, first 2 shown]
	v_pk_add_f16 v8, v50, v36
	v_pk_fma_f16 v33, 0xb836, v21, v27 op_sel:[0,0,1] op_sel_hi:[0,1,0] neg_lo:[0,1,0] neg_hi:[0,1,0]
	v_pk_mul_f16 v28, 0x39e9, v28 op_sel_hi:[0,1]
	v_pk_add_f16 v4, v7, v4
	v_pk_fma_f16 v7, 0xb836, v21, v27 op_sel:[0,0,1] op_sel_hi:[0,1,0]
	v_add_f16_e32 v61, v83, v61
	v_fmac_f16_e32 v75, 0xbbdd, v29
	v_fmac_f16_e32 v92, 0x3722, v29
	v_add_f16_e32 v63, v90, v64
	v_fmac_f16_e32 v78, 0x39e9, v29
	v_pk_add_f16 v8, v33, v8
	v_pk_fma_f16 v27, 0x3964, v25, v28 op_sel:[0,0,1] op_sel_hi:[0,1,0] neg_lo:[0,1,0] neg_hi:[0,1,0]
	v_pk_mul_f16 v29, 0xb8d2, v29 op_sel_hi:[0,1]
	v_pk_add_f16 v4, v7, v4
	v_pk_fma_f16 v7, 0x3964, v25, v28 op_sel:[0,0,1] op_sel_hi:[0,1,0]
	v_add_f16_e32 v61, v86, v61
	v_add_f16_e32 v63, v99, v63
	v_lshl_add_u32 v42, v3, 6, v0
	v_pack_b32_f16 v21, v53, v52
	v_pack_b32_f16 v25, v88, v82
	v_pk_add_f16 v8, v27, v8
	v_pk_fma_f16 v27, 0xba62, v22, v29 op_sel:[0,0,1] op_sel_hi:[0,1,0] neg_lo:[0,1,0] neg_hi:[0,1,0]
	v_pk_mul_f16 v28, 0x3722, v30 op_sel_hi:[0,1]
	v_pk_add_f16 v4, v7, v4
	v_pk_fma_f16 v7, 0xba62, v22, v29 op_sel:[0,0,1] op_sel_hi:[0,1,0]
	v_add_f16_e32 v56, v72, v56
	v_add_f16_e32 v61, v87, v61
	;; [unrolled: 1-line block ×3, first 2 shown]
	v_mul_f16_e32 v44, 0xb836, v9
	ds_write2_b32 v42, v25, v21 offset0:3 offset1:4
	v_pk_add_f16 v8, v27, v8
	v_pk_fma_f16 v21, 0x3b29, v26, v28 op_sel:[0,0,1] op_sel_hi:[0,1,0] neg_lo:[0,1,0] neg_hi:[0,1,0]
	v_pk_mul_f16 v22, 0xb461, v31 op_sel_hi:[0,1]
	v_pk_add_f16 v4, v7, v4
	v_pk_fma_f16 v7, 0x3b29, v26, v28 op_sel:[0,0,1] op_sel_hi:[0,1,0]
	v_add_f16_e32 v56, v75, v56
	v_fmac_f16_e32 v77, 0x2de8, v30
	v_add_f16_e32 v61, v92, v61
	v_fmac_f16_e32 v94, 0xbacd, v30
	;; [unrolled: 2-line block ×3, first 2 shown]
	v_pk_mul_f16 v41, 0x35c8b1e1, v9
	v_pk_add_f16 v8, v21, v8
	v_pk_fma_f16 v21, 0xbbb2, v19, v22 op_sel:[0,0,1] op_sel_hi:[0,1,0] neg_lo:[0,1,0] neg_hi:[0,1,0]
	v_pk_mul_f16 v26, 0x2de8, v32 op_sel_hi:[0,1]
	v_pk_add_f16 v4, v7, v4
	v_pk_fma_f16 v7, 0xbbb2, v19, v22 op_sel:[0,0,1] op_sel_hi:[0,1,0]
	v_bfi_b32 v22, 0xffff, v44, v17
	v_add_f16_e32 v56, v77, v56
	v_fmac_f16_e32 v80, 0x3b76, v31
	v_add_f16_e32 v61, v94, v61
	v_fmac_f16_e32 v71, 0xb8d2, v31
	;; [unrolled: 2-line block ×3, first 2 shown]
	v_pk_add_f16 v8, v21, v8
	v_pk_fma_f16 v21, 0x3bf7, v9, v26 op_sel:[0,0,1] op_sel_hi:[0,1,0] neg_lo:[0,1,0] neg_hi:[0,1,0]
	v_pk_add_f16 v4, v7, v4
	v_pk_fma_f16 v7, 0x3bf7, v9, v26 op_sel:[0,0,1] op_sel_hi:[0,1,0]
	v_pk_add_f16 v9, v48, v22 neg_lo:[0,1] neg_hi:[0,1]
	v_pk_add_f16 v17, v130, v17
	v_pack_b32_f16 v20, v20, v129
	v_bfi_b32 v22, 0xffff, v38, v41
	v_add_f16_e32 v56, v80, v56
	v_fmac_f16_e32 v69, 0xb8d2, v32
	v_add_f16_e32 v61, v71, v61
	v_fmac_f16_e32 v97, 0x39e9, v32
	;; [unrolled: 2-line block ×3, first 2 shown]
	v_pk_add_f16 v4, v7, v4
	v_bfi_b32 v7, 0xffff, v9, v17
	v_pk_add_f16 v9, v20, v22
	v_alignbit_b32 v43, v103, v57, 16
	v_pack_b32_f16 v34, v60, v57
	v_pack_b32_f16 v25, v45, v40
	v_pack_b32_f16 v19, v49, v46
	v_pk_add_f16 v8, v21, v8
	v_pack_b32_f16 v16, v39, v16
	v_add_f16_e32 v56, v69, v56
	v_add_f16_e32 v37, v97, v61
	;; [unrolled: 1-line block ×3, first 2 shown]
	v_pk_add_f16 v7, v7, v9
	ds_write2_b32 v42, v34, v43 offset0:1 offset1:2
	ds_write2_b32 v42, v19, v25 offset0:5 offset1:6
	ds_write2_b32 v42, v10, v16 offset1:7
	v_alignbit_b32 v10, v8, v4, 16
	v_alignbit_b32 v4, v4, v8, 16
	v_pack_b32_f16 v8, v12, v11
	v_pack_b32_f16 v9, v15, v14
	;; [unrolled: 1-line block ×4, first 2 shown]
	v_alignbit_b32 v13, v13, v7, 16
	v_pack_b32_f16 v7, v47, v7
	v_pack_b32_f16 v14, v35, v18
	ds_write2_b32 v42, v4, v10 offset0:8 offset1:9
	ds_write2_b32 v42, v9, v8 offset0:10 offset1:11
	;; [unrolled: 1-line block ×4, first 2 shown]
	ds_write_b32 v42, v14 offset:64
.LBB0_15:
	s_or_b32 exec_lo, exec_lo, s1
	v_add_nc_u16 v7, v3, 51
	v_and_b32_e32 v4, 0xff, v3
	v_add_nc_u16 v9, v3, 0x66
	v_add_nc_u16 v10, v3, 0x99
	v_mov_b32_e32 v13, 3
	v_and_b32_e32 v8, 0xff, v7
	v_mul_lo_u16 v4, 0xf1, v4
	v_and_b32_e32 v11, 0xff, v9
	v_and_b32_e32 v14, 0xff, v10
	s_load_dwordx2 s[2:3], s[2:3], 0x0
	v_mul_lo_u16 v8, 0xf1, v8
	v_lshrrev_b16 v4, 12, v4
	v_mul_lo_u16 v11, 0xf1, v11
	s_waitcnt lgkmcnt(0)
	s_barrier
	v_lshrrev_b16 v29, 12, v8
	v_mul_lo_u16 v8, 0xf1, v14
	v_mul_lo_u16 v12, v4, 17
	v_lshrrev_b16 v31, 12, v11
	buffer_gl0_inv
	v_mul_lo_u16 v11, v29, 17
	v_lshrrev_b16 v32, 12, v8
	v_sub_nc_u16 v30, v3, v12
	v_mul_lo_u16 v14, v31, 17
	v_mov_b32_e32 v37, 0xcc
	v_sub_nc_u16 v33, v7, v11
	v_mul_lo_u16 v11, v32, 17
	v_lshlrev_b32_sdwa v12, v13, v30 dst_sel:DWORD dst_unused:UNUSED_PAD src0_sel:DWORD src1_sel:BYTE_0
	v_sub_nc_u16 v34, v9, v14
	v_mov_b32_e32 v39, 2
	v_lshlrev_b32_sdwa v9, v13, v33 dst_sel:DWORD dst_unused:UNUSED_PAD src0_sel:DWORD src1_sel:BYTE_0
	v_sub_nc_u16 v35, v10, v11
	global_load_dwordx2 v[7:8], v12, s[12:13]
	v_lshlrev_b32_sdwa v11, v13, v34 dst_sel:DWORD dst_unused:UNUSED_PAD src0_sel:DWORD src1_sel:BYTE_0
	v_mul_u32_u24_sdwa v4, v4, v37 dst_sel:DWORD dst_unused:UNUSED_PAD src0_sel:WORD_0 src1_sel:DWORD
	global_load_dwordx2 v[9:10], v9, s[12:13]
	v_lshlrev_b32_sdwa v13, v13, v35 dst_sel:DWORD dst_unused:UNUSED_PAD src0_sel:DWORD src1_sel:BYTE_0
	v_lshlrev_b32_sdwa v30, v39, v30 dst_sel:DWORD dst_unused:UNUSED_PAD src0_sel:DWORD src1_sel:BYTE_0
	v_mul_u32_u24_sdwa v29, v29, v37 dst_sel:DWORD dst_unused:UNUSED_PAD src0_sel:WORD_0 src1_sel:DWORD
	s_clause 0x1
	global_load_dwordx2 v[11:12], v11, s[12:13]
	global_load_dwordx2 v[13:14], v13, s[12:13]
	ds_read2_b32 v[15:16], v0 offset1:51
	ds_read2_b32 v[17:18], v0 offset0:102 offset1:153
	ds_read2_b32 v[19:20], v24 offset0:126 offset1:177
	;; [unrolled: 1-line block ×5, first 2 shown]
	ds_read_u16 v38, v0 offset:1226
	v_mul_u32_u24_sdwa v31, v31, v37 dst_sel:DWORD dst_unused:UNUSED_PAD src0_sel:WORD_0 src1_sel:DWORD
	v_add3_u32 v4, 0, v4, v30
	v_lshlrev_b32_sdwa v30, v39, v33 dst_sel:DWORD dst_unused:UNUSED_PAD src0_sel:DWORD src1_sel:BYTE_0
	v_lshlrev_b32_sdwa v33, v39, v34 dst_sel:DWORD dst_unused:UNUSED_PAD src0_sel:DWORD src1_sel:BYTE_0
	v_mul_u32_u24_sdwa v32, v32, v37 dst_sel:DWORD dst_unused:UNUSED_PAD src0_sel:WORD_0 src1_sel:DWORD
	v_lshlrev_b32_sdwa v34, v39, v35 dst_sel:DWORD dst_unused:UNUSED_PAD src0_sel:DWORD src1_sel:BYTE_0
	v_mul_u32_u24_e32 v36, 5, v3
	v_add3_u32 v29, 0, v29, v30
	v_add3_u32 v30, 0, v31, v33
	s_waitcnt vmcnt(0) lgkmcnt(0)
	v_add3_u32 v32, 0, v32, v34
	v_lshlrev_b32_e32 v36, 2, v36
	s_barrier
	v_lshrrev_b32_e32 v40, 16, v15
	v_lshrrev_b32_e32 v41, 16, v16
	;; [unrolled: 1-line block ×11, first 2 shown]
	buffer_gl0_inv
	s_add_u32 s1, s12, 0x94c
	s_addc_u32 s4, s13, 0
	s_mov_b32 s5, exec_lo
	v_mul_f16_sdwa v31, v7, v47 dst_sel:DWORD dst_unused:UNUSED_PAD src0_sel:WORD_1 src1_sel:DWORD
	v_mul_f16_sdwa v33, v7, v25 dst_sel:DWORD dst_unused:UNUSED_PAD src0_sel:WORD_1 src1_sel:DWORD
	v_mul_f16_sdwa v35, v8, v48 dst_sel:DWORD dst_unused:UNUSED_PAD src0_sel:WORD_1 src1_sel:DWORD
	v_mul_f16_sdwa v37, v8, v27 dst_sel:DWORD dst_unused:UNUSED_PAD src0_sel:WORD_1 src1_sel:DWORD
	v_mul_f16_sdwa v34, v10, v28 dst_sel:DWORD dst_unused:UNUSED_PAD src0_sel:WORD_1 src1_sel:DWORD
	v_fma_f16 v25, v7, v25, -v31
	v_fmac_f16_e32 v33, v7, v47
	v_fma_f16 v7, v8, v27, -v35
	v_fmac_f16_e32 v37, v8, v48
	v_mul_f16_sdwa v8, v9, v49 dst_sel:DWORD dst_unused:UNUSED_PAD src0_sel:WORD_1 src1_sel:DWORD
	v_mul_f16_sdwa v27, v9, v26 dst_sel:DWORD dst_unused:UNUSED_PAD src0_sel:WORD_1 src1_sel:DWORD
	;; [unrolled: 1-line block ×3, first 2 shown]
	v_mul_f16_sdwa v35, v38, v11 dst_sel:DWORD dst_unused:UNUSED_PAD src0_sel:DWORD src1_sel:WORD_1
	v_mul_f16_sdwa v39, v11, v21 dst_sel:DWORD dst_unused:UNUSED_PAD src0_sel:WORD_1 src1_sel:DWORD
	v_mul_f16_sdwa v47, v43, v12 dst_sel:DWORD dst_unused:UNUSED_PAD src0_sel:DWORD src1_sel:WORD_1
	v_mul_f16_sdwa v48, v19, v12 dst_sel:DWORD dst_unused:UNUSED_PAD src0_sel:DWORD src1_sel:WORD_1
	;; [unrolled: 1-line block ×6, first 2 shown]
	v_fma_f16 v8, v9, v26, -v8
	v_fmac_f16_e32 v27, v9, v49
	v_fma_f16 v9, v10, v28, -v31
	v_fmac_f16_e32 v34, v10, v50
	;; [unrolled: 2-line block ×6, first 2 shown]
	v_add_f16_e32 v14, v15, v25
	v_add_f16_e32 v19, v25, v7
	;; [unrolled: 1-line block ×4, first 2 shown]
	v_sub_f16_e32 v20, v33, v37
	v_sub_f16_e32 v25, v25, v7
	v_add_f16_e32 v7, v14, v7
	v_fma_f16 v14, -0.5, v19, v15
	v_add_f16_e32 v15, v21, v37
	v_fmac_f16_e32 v40, -0.5, v22
	v_add_f16_e32 v21, v8, v9
	v_sub_f16_e32 v22, v27, v34
	v_add_f16_e32 v26, v41, v27
	v_add_f16_e32 v27, v27, v34
	;; [unrolled: 1-line block ×5, first 2 shown]
	v_sub_f16_e32 v33, v39, v48
	v_add_f16_e32 v35, v42, v39
	v_add_f16_e32 v39, v12, v13
	;; [unrolled: 1-line block ×3, first 2 shown]
	v_sub_f16_e32 v8, v8, v9
	v_add_f16_e32 v38, v18, v12
	v_add_f16_e32 v45, v44, v52
	v_sub_f16_e32 v12, v12, v13
	v_fmamk_f16 v47, v20, 0x3aee, v14
	v_fmac_f16_e32 v14, 0xbaee, v20
	v_fmamk_f16 v20, v25, 0xbaee, v40
	v_fmac_f16_e32 v16, -0.5, v21
	v_fmac_f16_e32 v41, -0.5, v27
	;; [unrolled: 1-line block ×3, first 2 shown]
	v_fmac_f16_e32 v40, 0x3aee, v25
	v_add_f16_e32 v28, v17, v10
	v_sub_f16_e32 v10, v10, v11
	v_fma_f16 v17, -0.5, v31, v17
	v_fmac_f16_e32 v42, -0.5, v37
	v_sub_f16_e32 v43, v52, v54
	v_fmac_f16_e32 v18, -0.5, v39
	v_add_f16_e32 v9, v19, v9
	v_add_f16_e32 v19, v26, v34
	v_pack_b32_f16 v7, v7, v15
	v_fmamk_f16 v15, v22, 0x3aee, v16
	v_fmac_f16_e32 v16, 0xbaee, v22
	v_fmamk_f16 v22, v8, 0xbaee, v41
	v_fmamk_f16 v27, v12, 0xbaee, v44
	v_fmac_f16_e32 v44, 0x3aee, v12
	v_pack_b32_f16 v12, v47, v20
	v_fmac_f16_e32 v41, 0x3aee, v8
	v_pack_b32_f16 v14, v14, v40
	v_add_f16_e32 v11, v28, v11
	v_add_f16_e32 v21, v35, v48
	v_fmamk_f16 v8, v33, 0x3aee, v17
	v_fmamk_f16 v26, v10, 0xbaee, v42
	v_fmac_f16_e32 v17, 0xbaee, v33
	v_fmac_f16_e32 v42, 0x3aee, v10
	v_add_f16_e32 v13, v38, v13
	v_add_f16_e32 v25, v45, v54
	v_fmamk_f16 v10, v43, 0x3aee, v18
	v_fmac_f16_e32 v18, 0xbaee, v43
	v_pack_b32_f16 v9, v9, v19
	ds_write2_b32 v4, v7, v12 offset1:17
	ds_write_b32 v4, v14 offset:136
	v_pack_b32_f16 v4, v15, v22
	v_pack_b32_f16 v7, v16, v41
	;; [unrolled: 1-line block ×8, first 2 shown]
	ds_write2_b32 v29, v9, v4 offset1:17
	ds_write_b32 v29, v7 offset:136
	ds_write2_b32 v30, v11, v8 offset1:17
	ds_write_b32 v30, v12 offset:136
	;; [unrolled: 2-line block ×3, first 2 shown]
	s_waitcnt lgkmcnt(0)
	s_barrier
	buffer_gl0_inv
	s_clause 0x1
	global_load_dwordx4 v[9:12], v36, s[12:13] offset:136
	global_load_dword v31, v36, s[12:13] offset:152
	ds_read2_b32 v[13:14], v0 offset1:51
	ds_read2_b32 v[15:16], v0 offset0:102 offset1:153
	ds_read2_b32 v[17:18], v0 offset0:204 offset1:255
	;; [unrolled: 1-line block ×5, first 2 shown]
	v_mov_b32_e32 v4, 0
	s_waitcnt vmcnt(0) lgkmcnt(0)
	s_barrier
	buffer_gl0_inv
	v_lshlrev_b64 v[7:8], 2, v[3:4]
	v_add_co_u32 v27, s0, s12, v7
	v_add_co_ci_u32_e64 v28, s0, s13, v8, s0
	v_lshrrev_b32_e32 v33, 16, v16
	v_lshrrev_b32_e32 v39, 16, v17
	;; [unrolled: 1-line block ×12, first 2 shown]
	v_add_co_u32 v29, s0, 0x800, v27
	v_add_co_ci_u32_e64 v30, s0, 0, v28, s0
	v_mul_f16_sdwa v45, v10, v39 dst_sel:DWORD dst_unused:UNUSED_PAD src0_sel:WORD_1 src1_sel:DWORD
	v_mul_f16_sdwa v46, v10, v17 dst_sel:DWORD dst_unused:UNUSED_PAD src0_sel:WORD_1 src1_sel:DWORD
	;; [unrolled: 1-line block ×10, first 2 shown]
	v_mul_f16_sdwa v53, v33, v9 dst_sel:DWORD dst_unused:UNUSED_PAD src0_sel:DWORD src1_sel:WORD_1
	v_mul_f16_sdwa v54, v16, v9 dst_sel:DWORD dst_unused:UNUSED_PAD src0_sel:DWORD src1_sel:WORD_1
	;; [unrolled: 1-line block ×10, first 2 shown]
	v_fma_f16 v17, v10, v17, -v45
	v_fmac_f16_e32 v46, v10, v39
	v_fma_f16 v19, v11, v19, -v47
	v_fmac_f16_e32 v48, v11, v40
	;; [unrolled: 2-line block ×10, first 2 shown]
	v_add_f16_e32 v20, v17, v21
	v_add_f16_e32 v31, v46, v50
	;; [unrolled: 1-line block ×7, first 2 shown]
	v_sub_f16_e32 v35, v48, v52
	v_add_f16_e32 v36, v44, v48
	v_add_f16_e32 v42, v56, v60
	;; [unrolled: 1-line block ×4, first 2 shown]
	v_sub_f16_e32 v22, v46, v50
	v_sub_f16_e32 v17, v17, v21
	;; [unrolled: 1-line block ×3, first 2 shown]
	v_add_f16_e32 v38, v14, v9
	v_add_f16_e32 v41, v32, v56
	;; [unrolled: 1-line block ×4, first 2 shown]
	v_fma_f16 v13, -0.5, v20, v13
	v_fmac_f16_e32 v4, -0.5, v31
	v_fmac_f16_e32 v15, -0.5, v34
	;; [unrolled: 1-line block ×3, first 2 shown]
	v_add_f16_e32 v39, v9, v11
	v_sub_f16_e32 v9, v9, v11
	v_sub_f16_e32 v46, v58, v62
	;; [unrolled: 1-line block ×3, first 2 shown]
	v_add_f16_e32 v18, v18, v21
	v_add_f16_e32 v20, v26, v50
	;; [unrolled: 1-line block ×4, first 2 shown]
	v_fmac_f16_e32 v32, -0.5, v42
	v_fmac_f16_e32 v16, -0.5, v45
	;; [unrolled: 1-line block ×3, first 2 shown]
	v_add_f16_e32 v11, v38, v11
	v_add_f16_e32 v26, v41, v60
	;; [unrolled: 1-line block ×4, first 2 shown]
	v_fmamk_f16 v33, v22, 0x3aee, v13
	v_fmac_f16_e32 v13, 0xbaee, v22
	v_fmamk_f16 v22, v17, 0xbaee, v4
	v_fmac_f16_e32 v4, 0x3aee, v17
	v_fmamk_f16 v17, v35, 0x3aee, v15
	v_fmamk_f16 v34, v19, 0xbaee, v44
	v_fmac_f16_e32 v15, 0xbaee, v35
	v_fmac_f16_e32 v44, 0x3aee, v19
	v_sub_f16_e32 v40, v56, v60
	v_fmac_f16_e32 v14, -0.5, v39
	v_add_f16_e32 v35, v20, v25
	v_sub_f16_e32 v20, v20, v25
	v_fmamk_f16 v25, v9, 0xbaee, v32
	v_fmac_f16_e32 v32, 0x3aee, v9
	v_fmamk_f16 v9, v46, 0x3aee, v16
	v_fmamk_f16 v36, v10, 0xbaee, v54
	v_fmac_f16_e32 v16, 0xbaee, v46
	v_fmac_f16_e32 v54, 0x3aee, v10
	v_add_f16_e32 v10, v11, v12
	v_add_f16_e32 v37, v26, v31
	v_sub_f16_e32 v11, v11, v12
	v_sub_f16_e32 v12, v26, v31
	v_mul_f16_e32 v26, 0x3aee, v34
	v_mul_f16_e32 v38, 0xbaee, v17
	v_mul_f16_e32 v31, -0.5, v15
	v_mul_f16_e32 v39, -0.5, v44
	v_add_f16_e32 v19, v18, v21
	v_sub_f16_e32 v18, v18, v21
	v_fmamk_f16 v21, v40, 0x3aee, v14
	v_fmac_f16_e32 v14, 0xbaee, v40
	v_mul_f16_e32 v40, 0x3aee, v36
	v_mul_f16_e32 v42, 0xbaee, v9
	v_mul_f16_e32 v41, -0.5, v16
	v_mul_f16_e32 v43, -0.5, v54
	v_fmac_f16_e32 v26, 0.5, v17
	v_fmac_f16_e32 v38, 0.5, v34
	v_fmac_f16_e32 v31, 0x3aee, v44
	v_fmac_f16_e32 v39, 0xbaee, v15
	v_fmac_f16_e32 v40, 0.5, v9
	v_fmac_f16_e32 v42, 0.5, v36
	v_fmac_f16_e32 v41, 0x3aee, v54
	v_fmac_f16_e32 v43, 0xbaee, v16
	v_add_f16_e32 v9, v33, v26
	v_add_f16_e32 v15, v22, v38
	v_pack_b32_f16 v11, v11, v12
	v_add_f16_e32 v12, v13, v31
	v_add_f16_e32 v16, v4, v39
	v_pack_b32_f16 v18, v18, v20
	v_sub_f16_e32 v17, v33, v26
	v_sub_f16_e32 v13, v13, v31
	;; [unrolled: 1-line block ×4, first 2 shown]
	v_add_f16_e32 v22, v21, v40
	v_add_f16_e32 v31, v25, v42
	;; [unrolled: 1-line block ×4, first 2 shown]
	v_pack_b32_f16 v19, v19, v35
	v_sub_f16_e32 v21, v21, v40
	v_sub_f16_e32 v14, v14, v41
	;; [unrolled: 1-line block ×4, first 2 shown]
	v_pack_b32_f16 v9, v9, v15
	v_pack_b32_f16 v12, v12, v16
	;; [unrolled: 1-line block ×9, first 2 shown]
	ds_write2_b32 v0, v19, v9 offset1:51
	ds_write2_b32 v0, v12, v18 offset0:102 offset1:153
	ds_write2_b32 v0, v15, v4 offset0:204 offset1:255
	ds_write2_b32 v23, v10, v13 offset0:50 offset1:101
	ds_write2_b32 v23, v16, v11 offset0:152 offset1:203
	ds_write2_b32 v24, v17, v14 offset0:126 offset1:177
	s_waitcnt lgkmcnt(0)
	s_barrier
	buffer_gl0_inv
	s_clause 0x5
	global_load_dword v4, v[27:28], off offset:1156
	global_load_dword v21, v[27:28], off offset:1360
	;; [unrolled: 1-line block ×6, first 2 shown]
	ds_read2_b32 v[9:10], v23 offset0:50 offset1:101
	ds_read2_b32 v[11:12], v23 offset0:152 offset1:203
	;; [unrolled: 1-line block ×3, first 2 shown]
	ds_read2_b32 v[15:16], v0 offset1:51
	ds_read2_b32 v[17:18], v0 offset0:102 offset1:153
	ds_read2_b32 v[19:20], v0 offset0:204 offset1:255
	s_waitcnt vmcnt(0) lgkmcnt(0)
	s_barrier
	buffer_gl0_inv
	v_pk_mul_f16 v28, v4, v9 op_sel:[0,1]
	v_pk_mul_f16 v29, v21, v10 op_sel:[0,1]
	;; [unrolled: 1-line block ×6, first 2 shown]
	v_pk_fma_f16 v34, v4, v9, v28 op_sel:[0,0,1] op_sel_hi:[1,1,0] neg_lo:[0,0,1] neg_hi:[0,0,1]
	v_pk_fma_f16 v4, v4, v9, v28 op_sel:[0,0,1] op_sel_hi:[1,0,0]
	v_pk_fma_f16 v9, v21, v10, v29 op_sel:[0,0,1] op_sel_hi:[1,1,0] neg_lo:[0,0,1] neg_hi:[0,0,1]
	v_pk_fma_f16 v10, v21, v10, v29 op_sel:[0,0,1] op_sel_hi:[1,0,0]
	v_pk_fma_f16 v21, v22, v11, v30 op_sel:[0,0,1] op_sel_hi:[1,1,0] neg_lo:[0,0,1] neg_hi:[0,0,1]
	v_pk_fma_f16 v11, v22, v11, v30 op_sel:[0,0,1] op_sel_hi:[1,0,0]
	v_pk_fma_f16 v22, v25, v12, v31 op_sel:[0,0,1] op_sel_hi:[1,1,0] neg_lo:[0,0,1] neg_hi:[0,0,1]
	v_pk_fma_f16 v12, v25, v12, v31 op_sel:[0,0,1] op_sel_hi:[1,0,0]
	v_pk_fma_f16 v25, v26, v13, v32 op_sel:[0,0,1] op_sel_hi:[1,1,0] neg_lo:[0,0,1] neg_hi:[0,0,1]
	v_pk_fma_f16 v13, v26, v13, v32 op_sel:[0,0,1] op_sel_hi:[1,0,0]
	v_pk_fma_f16 v26, v14, v27, v33 op_sel:[0,0,1] op_sel_hi:[1,1,0] neg_lo:[0,0,1] neg_hi:[0,0,1]
	v_pk_fma_f16 v14, v14, v27, v33 op_sel:[0,0,1] op_sel_hi:[1,0,0]
	v_bfi_b32 v4, 0xffff, v34, v4
	v_bfi_b32 v9, 0xffff, v9, v10
	;; [unrolled: 1-line block ×6, first 2 shown]
	v_pk_add_f16 v4, v15, v4 neg_lo:[0,1] neg_hi:[0,1]
	v_pk_add_f16 v9, v16, v9 neg_lo:[0,1] neg_hi:[0,1]
	;; [unrolled: 1-line block ×6, first 2 shown]
	v_pk_fma_f16 v14, v15, 2.0, v4 op_sel_hi:[1,0,1] neg_lo:[0,0,1] neg_hi:[0,0,1]
	v_pk_fma_f16 v15, v16, 2.0, v9 op_sel_hi:[1,0,1] neg_lo:[0,0,1] neg_hi:[0,0,1]
	;; [unrolled: 1-line block ×6, first 2 shown]
	ds_write2_b32 v23, v4, v9 offset0:50 offset1:101
	ds_write2_b32 v23, v10, v11 offset0:152 offset1:203
	;; [unrolled: 1-line block ×3, first 2 shown]
	ds_write2_b32 v0, v14, v15 offset1:51
	ds_write2_b32 v0, v16, v17 offset0:102 offset1:153
	ds_write2_b32 v0, v18, v19 offset0:204 offset1:255
	s_waitcnt lgkmcnt(0)
	s_barrier
	buffer_gl0_inv
	ds_read_b32 v12, v0
	v_lshlrev_b32_e32 v4, 2, v3
                                        ; implicit-def: $vgpr11
                                        ; implicit-def: $vgpr9
                                        ; implicit-def: $vgpr10
	v_sub_nc_u32_e32 v4, 0, v4
	v_cmpx_ne_u32_e32 0, v3
	s_xor_b32 s5, exec_lo, s5
	s_cbranch_execz .LBB0_17
; %bb.16:
	v_add_co_u32 v9, s0, s1, v7
	v_add_co_ci_u32_e64 v10, s0, s4, v8, s0
	global_load_dword v9, v[9:10], off
	ds_read_b32 v10, v4 offset:2448
	s_waitcnt lgkmcnt(0)
	v_pk_add_f16 v11, v12, v10 neg_lo:[0,1] neg_hi:[0,1]
	v_pk_add_f16 v10, v10, v12
	v_bfi_b32 v12, 0xffff, v11, v10
	v_bfi_b32 v10, 0xffff, v10, v11
	v_pk_mul_f16 v12, v12, 0.5 op_sel_hi:[1,0]
	v_pk_mul_f16 v13, v10, 0.5 op_sel_hi:[1,0]
	s_waitcnt vmcnt(0)
	v_pk_mul_f16 v11, v9, v12 op_sel:[1,0]
	v_pk_mul_f16 v12, v9, v12 op_sel_hi:[0,1]
	v_pk_fma_f16 v9, v10, 0.5, v11 op_sel_hi:[1,0,1]
	v_sub_f16_e32 v10, v13, v11
	v_sub_f16_sdwa v13, v11, v13 dst_sel:DWORD dst_unused:UNUSED_PAD src0_sel:WORD_1 src1_sel:WORD_1
	v_pk_add_f16 v14, v9, v12 op_sel:[0,1] op_sel_hi:[1,0]
	v_pk_add_f16 v15, v9, v12 op_sel:[0,1] op_sel_hi:[1,0] neg_lo:[0,1] neg_hi:[0,1]
	v_sub_f16_sdwa v9, v10, v12 dst_sel:DWORD dst_unused:UNUSED_PAD src0_sel:DWORD src1_sel:WORD_1
	v_sub_f16_e32 v10, v13, v12
                                        ; implicit-def: $vgpr12
	v_bfi_b32 v11, 0xffff, v14, v15
.LBB0_17:
	s_andn2_saveexec_b32 s0, s5
	s_cbranch_execz .LBB0_19
; %bb.18:
	v_mov_b32_e32 v10, 0
	s_waitcnt lgkmcnt(0)
	v_alignbit_b32 v9, s0, v12, 16
	ds_read_u16 v11, v10 offset:1226
	v_pk_add_f16 v13, v9, v12
	v_sub_f16_sdwa v9, v12, v12 dst_sel:DWORD dst_unused:UNUSED_PAD src0_sel:DWORD src1_sel:WORD_1
	s_waitcnt lgkmcnt(0)
	v_xor_b32_e32 v12, 0x8000, v11
	v_pack_b32_f16 v11, v13, 0
	ds_write_b16 v10, v12 offset:1226
.LBB0_19:
	s_or_b32 exec_lo, exec_lo, s0
	v_add_co_u32 v7, s0, s1, v7
	v_add_co_ci_u32_e64 v8, s0, s4, v8, s0
	s_waitcnt lgkmcnt(0)
	s_clause 0x4
	global_load_dword v12, v[7:8], off offset:204
	global_load_dword v13, v[7:8], off offset:408
	;; [unrolled: 1-line block ×5, first 2 shown]
	ds_write_b16 v4, v10 offset:2450
	ds_write_b32 v0, v11
	ds_write_b16 v4, v9 offset:2448
	ds_read_b32 v8, v0 offset:204
	ds_read_b32 v9, v4 offset:2244
	s_waitcnt lgkmcnt(0)
	v_pk_add_f16 v10, v8, v9 neg_lo:[0,1] neg_hi:[0,1]
	v_pk_add_f16 v8, v8, v9
	v_bfi_b32 v9, 0xffff, v10, v8
	v_bfi_b32 v8, 0xffff, v8, v10
	v_pk_mul_f16 v9, v9, 0.5 op_sel_hi:[1,0]
	v_pk_mul_f16 v8, v8, 0.5 op_sel_hi:[1,0]
	s_waitcnt vmcnt(4)
	v_pk_fma_f16 v10, v12, v9, v8 op_sel:[1,0,0]
	v_pk_mul_f16 v11, v12, v9 op_sel_hi:[0,1]
	v_pk_fma_f16 v16, v12, v9, v8 op_sel:[1,0,0] neg_lo:[1,0,0] neg_hi:[1,0,0]
	v_pk_fma_f16 v8, v12, v9, v8 op_sel:[1,0,0] neg_lo:[0,0,1] neg_hi:[0,0,1]
	v_pk_add_f16 v9, v10, v11 op_sel:[0,1] op_sel_hi:[1,0]
	v_pk_add_f16 v10, v10, v11 op_sel:[0,1] op_sel_hi:[1,0] neg_lo:[0,1] neg_hi:[0,1]
	v_pk_add_f16 v12, v16, v11 op_sel:[0,1] op_sel_hi:[1,0] neg_lo:[0,1] neg_hi:[0,1]
	;; [unrolled: 1-line block ×3, first 2 shown]
	v_bfi_b32 v9, 0xffff, v9, v10
	v_bfi_b32 v8, 0xffff, v12, v8
	ds_write_b32 v0, v9 offset:204
	ds_write_b32 v4, v8 offset:2244
	ds_read_b32 v8, v0 offset:408
	ds_read_b32 v9, v4 offset:2040
	s_waitcnt lgkmcnt(0)
	v_pk_add_f16 v10, v8, v9 neg_lo:[0,1] neg_hi:[0,1]
	v_pk_add_f16 v8, v8, v9
	v_bfi_b32 v9, 0xffff, v10, v8
	v_bfi_b32 v8, 0xffff, v8, v10
	v_pk_mul_f16 v9, v9, 0.5 op_sel_hi:[1,0]
	v_pk_mul_f16 v11, v8, 0.5 op_sel_hi:[1,0]
	s_waitcnt vmcnt(3)
	v_pk_mul_f16 v10, v13, v9 op_sel:[1,0]
	v_pk_mul_f16 v9, v13, v9 op_sel_hi:[0,1]
	v_pk_fma_f16 v8, v8, 0.5, v10 op_sel_hi:[1,0,1]
	v_sub_f16_sdwa v12, v10, v11 dst_sel:DWORD dst_unused:UNUSED_PAD src0_sel:WORD_1 src1_sel:WORD_1
	v_sub_f16_e32 v10, v11, v10
	v_pk_add_f16 v13, v8, v9 op_sel:[0,1] op_sel_hi:[1,0]
	v_pk_add_f16 v8, v8, v9 op_sel:[0,1] op_sel_hi:[1,0] neg_lo:[0,1] neg_hi:[0,1]
	v_sub_f16_e32 v11, v12, v9
	v_sub_f16_sdwa v9, v10, v9 dst_sel:DWORD dst_unused:UNUSED_PAD src0_sel:DWORD src1_sel:WORD_1
	v_bfi_b32 v8, 0xffff, v13, v8
	ds_write_b16 v4, v11 offset:2042
	ds_write_b32 v0, v8 offset:408
	ds_write_b16 v4, v9 offset:2040
	ds_read_b32 v8, v0 offset:612
	ds_read_b32 v9, v4 offset:1836
	s_waitcnt lgkmcnt(0)
	v_pk_add_f16 v10, v8, v9 neg_lo:[0,1] neg_hi:[0,1]
	v_pk_add_f16 v8, v8, v9
	v_bfi_b32 v9, 0xffff, v10, v8
	v_bfi_b32 v8, 0xffff, v8, v10
	v_pk_mul_f16 v9, v9, 0.5 op_sel_hi:[1,0]
	v_pk_mul_f16 v11, v8, 0.5 op_sel_hi:[1,0]
	s_waitcnt vmcnt(2)
	v_pk_mul_f16 v10, v14, v9 op_sel:[1,0]
	v_pk_mul_f16 v9, v14, v9 op_sel_hi:[0,1]
	v_pk_fma_f16 v8, v8, 0.5, v10 op_sel_hi:[1,0,1]
	v_sub_f16_sdwa v12, v10, v11 dst_sel:DWORD dst_unused:UNUSED_PAD src0_sel:WORD_1 src1_sel:WORD_1
	v_sub_f16_e32 v10, v11, v10
	v_pk_add_f16 v13, v8, v9 op_sel:[0,1] op_sel_hi:[1,0]
	v_pk_add_f16 v8, v8, v9 op_sel:[0,1] op_sel_hi:[1,0] neg_lo:[0,1] neg_hi:[0,1]
	v_sub_f16_e32 v11, v12, v9
	v_sub_f16_sdwa v9, v10, v9 dst_sel:DWORD dst_unused:UNUSED_PAD src0_sel:DWORD src1_sel:WORD_1
	v_bfi_b32 v8, 0xffff, v13, v8
	ds_write_b16 v4, v11 offset:1838
	ds_write_b32 v0, v8 offset:612
	ds_write_b16 v4, v9 offset:1836
	ds_read_b32 v8, v0 offset:816
	ds_read_b32 v9, v4 offset:1632
	s_waitcnt lgkmcnt(0)
	v_pk_add_f16 v10, v8, v9 neg_lo:[0,1] neg_hi:[0,1]
	v_pk_add_f16 v8, v8, v9
	v_bfi_b32 v9, 0xffff, v10, v8
	v_bfi_b32 v8, 0xffff, v8, v10
	v_pk_mul_f16 v9, v9, 0.5 op_sel_hi:[1,0]
	v_pk_mul_f16 v8, v8, 0.5 op_sel_hi:[1,0]
	s_waitcnt vmcnt(1)
	v_pk_mul_f16 v11, v15, v9 op_sel_hi:[0,1]
	v_pk_fma_f16 v10, v15, v9, v8 op_sel:[1,0,0]
	v_pk_fma_f16 v12, v15, v9, v8 op_sel:[1,0,0] neg_lo:[1,0,0] neg_hi:[1,0,0]
	v_pk_fma_f16 v8, v15, v9, v8 op_sel:[1,0,0] neg_lo:[0,0,1] neg_hi:[0,0,1]
	v_pk_add_f16 v9, v10, v11 op_sel:[0,1] op_sel_hi:[1,0]
	v_pk_add_f16 v10, v10, v11 op_sel:[0,1] op_sel_hi:[1,0] neg_lo:[0,1] neg_hi:[0,1]
	v_pk_add_f16 v12, v12, v11 op_sel:[0,1] op_sel_hi:[1,0] neg_lo:[0,1] neg_hi:[0,1]
	;; [unrolled: 1-line block ×3, first 2 shown]
	v_bfi_b32 v9, 0xffff, v9, v10
	v_bfi_b32 v8, 0xffff, v12, v8
	ds_write_b32 v0, v9 offset:816
	ds_write_b32 v4, v8 offset:1632
	ds_read_b32 v8, v0 offset:1020
	ds_read_b32 v9, v4 offset:1428
	s_waitcnt lgkmcnt(0)
	v_pk_add_f16 v10, v8, v9 neg_lo:[0,1] neg_hi:[0,1]
	v_pk_add_f16 v8, v8, v9
	v_bfi_b32 v9, 0xffff, v10, v8
	v_bfi_b32 v8, 0xffff, v8, v10
	v_pk_mul_f16 v9, v9, 0.5 op_sel_hi:[1,0]
	v_pk_mul_f16 v8, v8, 0.5 op_sel_hi:[1,0]
	s_waitcnt vmcnt(0)
	v_pk_mul_f16 v11, v7, v9 op_sel_hi:[0,1]
	v_pk_fma_f16 v10, v7, v9, v8 op_sel:[1,0,0]
	v_pk_fma_f16 v12, v7, v9, v8 op_sel:[1,0,0] neg_lo:[1,0,0] neg_hi:[1,0,0]
	v_pk_fma_f16 v7, v7, v9, v8 op_sel:[1,0,0] neg_lo:[0,0,1] neg_hi:[0,0,1]
	v_pk_add_f16 v8, v10, v11 op_sel:[0,1] op_sel_hi:[1,0]
	v_pk_add_f16 v9, v10, v11 op_sel:[0,1] op_sel_hi:[1,0] neg_lo:[0,1] neg_hi:[0,1]
	v_pk_add_f16 v10, v12, v11 op_sel:[0,1] op_sel_hi:[1,0] neg_lo:[0,1] neg_hi:[0,1]
	v_pk_add_f16 v7, v7, v11 op_sel:[0,1] op_sel_hi:[1,0] neg_lo:[0,1] neg_hi:[0,1]
	v_bfi_b32 v8, 0xffff, v8, v9
	v_bfi_b32 v7, 0xffff, v10, v7
	ds_write_b32 v0, v8 offset:1020
	ds_write_b32 v4, v7 offset:1428
	s_waitcnt lgkmcnt(0)
	s_barrier
	buffer_gl0_inv
	s_and_saveexec_b32 s0, vcc_lo
	s_cbranch_execz .LBB0_22
; %bb.20:
	v_mul_lo_u32 v0, s3, v5
	v_mul_lo_u32 v7, s2, v6
	v_mad_u64_u32 v[5:6], null, s2, v5, 0
	v_lshl_add_u32 v21, v3, 2, 0
	v_mov_b32_e32 v4, 0
	v_add_nc_u32_e32 v9, 0x66, v3
	ds_read2_b32 v[11:12], v21 offset1:51
	v_add3_u32 v6, v6, v7, v0
	v_lshlrev_b64 v[0:1], 2, v[1:2]
	v_add_nc_u32_e32 v7, 51, v3
	v_mov_b32_e32 v8, v4
	ds_read2_b32 v[15:16], v21 offset0:102 offset1:153
	v_lshlrev_b64 v[5:6], 2, v[5:6]
	v_lshlrev_b64 v[13:14], 2, v[3:4]
	v_mov_b32_e32 v10, v4
	ds_read2_b32 v[19:20], v21 offset0:204 offset1:255
	v_mov_b32_e32 v18, v4
	v_add_co_u32 v2, vcc_lo, s10, v5
	v_add_co_ci_u32_e32 v17, vcc_lo, s11, v6, vcc_lo
	v_lshlrev_b64 v[5:6], 2, v[7:8]
	v_add_co_u32 v0, vcc_lo, v2, v0
	v_add_co_ci_u32_e32 v1, vcc_lo, v17, v1, vcc_lo
	v_lshlrev_b64 v[7:8], 2, v[9:10]
	v_add_co_u32 v9, vcc_lo, v0, v13
	v_add_co_ci_u32_e32 v10, vcc_lo, v1, v14, vcc_lo
	v_add_co_u32 v5, vcc_lo, v0, v5
	v_add_nc_u32_e32 v13, 0x99, v3
	v_mov_b32_e32 v14, v4
	v_add_co_ci_u32_e32 v6, vcc_lo, v1, v6, vcc_lo
	v_add_co_u32 v7, vcc_lo, v0, v7
	v_add_nc_u32_e32 v17, 0xcc, v3
	v_add_co_ci_u32_e32 v8, vcc_lo, v1, v8, vcc_lo
	v_lshlrev_b64 v[13:14], 2, v[13:14]
	s_waitcnt lgkmcnt(2)
	global_store_dword v[9:10], v11, off
	global_store_dword v[5:6], v12, off
	s_waitcnt lgkmcnt(1)
	global_store_dword v[7:8], v15, off
	v_lshlrev_b64 v[5:6], 2, v[17:18]
	v_add_nc_u32_e32 v2, 0x400, v21
	v_add_nc_u32_e32 v9, 0xff, v3
	v_mov_b32_e32 v10, v4
	v_add_co_u32 v7, vcc_lo, v0, v13
	v_add_co_ci_u32_e32 v8, vcc_lo, v1, v14, vcc_lo
	v_add_co_u32 v5, vcc_lo, v0, v5
	v_add_co_ci_u32_e32 v6, vcc_lo, v1, v6, vcc_lo
	v_add_nc_u32_e32 v11, 0x132, v3
	v_mov_b32_e32 v12, v4
	global_store_dword v[7:8], v16, off
	s_waitcnt lgkmcnt(0)
	global_store_dword v[5:6], v19, off
	ds_read2_b32 v[7:8], v2 offset0:50 offset1:101
	v_lshlrev_b64 v[5:6], 2, v[9:10]
	v_add_nc_u32_e32 v13, 0x198, v3
	v_lshlrev_b64 v[9:10], 2, v[11:12]
	v_add_nc_u32_e32 v11, 0x165, v3
	v_mov_b32_e32 v14, v4
	v_add_nc_u32_e32 v15, 0x231, v3
	v_add_co_u32 v5, vcc_lo, v0, v5
	v_lshlrev_b64 v[11:12], 2, v[11:12]
	v_add_co_ci_u32_e32 v6, vcc_lo, v1, v6, vcc_lo
	v_add_co_u32 v9, vcc_lo, v0, v9
	v_add_co_ci_u32_e32 v10, vcc_lo, v1, v10, vcc_lo
	v_add_co_u32 v11, vcc_lo, v0, v11
	v_add_co_ci_u32_e32 v12, vcc_lo, v1, v12, vcc_lo
	global_store_dword v[5:6], v20, off
	s_waitcnt lgkmcnt(0)
	global_store_dword v[9:10], v7, off
	global_store_dword v[11:12], v8, off
	v_add_nc_u32_e32 v9, 0x1cb, v3
	v_mov_b32_e32 v10, v4
	ds_read2_b32 v[5:6], v2 offset0:152 offset1:203
	v_lshlrev_b64 v[7:8], 2, v[13:14]
	v_add_nc_u32_e32 v2, 0x600, v21
	v_add_nc_u32_e32 v11, 0x1fe, v3
	v_mov_b32_e32 v12, v4
	v_lshlrev_b64 v[9:10], 2, v[9:10]
	v_mov_b32_e32 v16, v4
	ds_read2_b32 v[13:14], v2 offset0:126 offset1:177
	v_add_co_u32 v7, vcc_lo, v0, v7
	v_lshlrev_b64 v[11:12], 2, v[11:12]
	v_add_co_ci_u32_e32 v8, vcc_lo, v1, v8, vcc_lo
	v_add_co_u32 v9, vcc_lo, v0, v9
	v_lshlrev_b64 v[15:16], 2, v[15:16]
	v_add_co_ci_u32_e32 v10, vcc_lo, v1, v10, vcc_lo
	v_add_co_u32 v11, vcc_lo, v0, v11
	v_add_co_ci_u32_e32 v12, vcc_lo, v1, v12, vcc_lo
	v_add_co_u32 v15, vcc_lo, v0, v15
	v_add_co_ci_u32_e32 v16, vcc_lo, v1, v16, vcc_lo
	v_cmp_eq_u32_e32 vcc_lo, 50, v3
	s_waitcnt lgkmcnt(1)
	global_store_dword v[7:8], v5, off
	global_store_dword v[9:10], v6, off
	s_waitcnt lgkmcnt(0)
	global_store_dword v[11:12], v13, off
	global_store_dword v[15:16], v14, off
	s_and_b32 exec_lo, exec_lo, vcc_lo
	s_cbranch_execz .LBB0_22
; %bb.21:
	ds_read_b32 v2, v4 offset:2448
	v_add_co_u32 v0, vcc_lo, 0x800, v0
	v_add_co_ci_u32_e32 v1, vcc_lo, 0, v1, vcc_lo
	s_waitcnt lgkmcnt(0)
	global_store_dword v[0:1], v2, off offset:400
.LBB0_22:
	s_endpgm
	.section	.rodata,"a",@progbits
	.p2align	6, 0x0
	.amdhsa_kernel fft_rtc_fwd_len612_factors_17_3_6_2_wgs_51_tpt_51_halfLds_half_op_CI_CI_unitstride_sbrr_R2C_dirReg
		.amdhsa_group_segment_fixed_size 0
		.amdhsa_private_segment_fixed_size 0
		.amdhsa_kernarg_size 104
		.amdhsa_user_sgpr_count 6
		.amdhsa_user_sgpr_private_segment_buffer 1
		.amdhsa_user_sgpr_dispatch_ptr 0
		.amdhsa_user_sgpr_queue_ptr 0
		.amdhsa_user_sgpr_kernarg_segment_ptr 1
		.amdhsa_user_sgpr_dispatch_id 0
		.amdhsa_user_sgpr_flat_scratch_init 0
		.amdhsa_user_sgpr_private_segment_size 0
		.amdhsa_wavefront_size32 1
		.amdhsa_uses_dynamic_stack 0
		.amdhsa_system_sgpr_private_segment_wavefront_offset 0
		.amdhsa_system_sgpr_workgroup_id_x 1
		.amdhsa_system_sgpr_workgroup_id_y 0
		.amdhsa_system_sgpr_workgroup_id_z 0
		.amdhsa_system_sgpr_workgroup_info 0
		.amdhsa_system_vgpr_workitem_id 0
		.amdhsa_next_free_vgpr 134
		.amdhsa_next_free_sgpr 27
		.amdhsa_reserve_vcc 1
		.amdhsa_reserve_flat_scratch 0
		.amdhsa_float_round_mode_32 0
		.amdhsa_float_round_mode_16_64 0
		.amdhsa_float_denorm_mode_32 3
		.amdhsa_float_denorm_mode_16_64 3
		.amdhsa_dx10_clamp 1
		.amdhsa_ieee_mode 1
		.amdhsa_fp16_overflow 0
		.amdhsa_workgroup_processor_mode 1
		.amdhsa_memory_ordered 1
		.amdhsa_forward_progress 0
		.amdhsa_shared_vgpr_count 0
		.amdhsa_exception_fp_ieee_invalid_op 0
		.amdhsa_exception_fp_denorm_src 0
		.amdhsa_exception_fp_ieee_div_zero 0
		.amdhsa_exception_fp_ieee_overflow 0
		.amdhsa_exception_fp_ieee_underflow 0
		.amdhsa_exception_fp_ieee_inexact 0
		.amdhsa_exception_int_div_zero 0
	.end_amdhsa_kernel
	.text
.Lfunc_end0:
	.size	fft_rtc_fwd_len612_factors_17_3_6_2_wgs_51_tpt_51_halfLds_half_op_CI_CI_unitstride_sbrr_R2C_dirReg, .Lfunc_end0-fft_rtc_fwd_len612_factors_17_3_6_2_wgs_51_tpt_51_halfLds_half_op_CI_CI_unitstride_sbrr_R2C_dirReg
                                        ; -- End function
	.section	.AMDGPU.csdata,"",@progbits
; Kernel info:
; codeLenInByte = 11592
; NumSgprs: 29
; NumVgprs: 134
; ScratchSize: 0
; MemoryBound: 0
; FloatMode: 240
; IeeeMode: 1
; LDSByteSize: 0 bytes/workgroup (compile time only)
; SGPRBlocks: 3
; VGPRBlocks: 16
; NumSGPRsForWavesPerEU: 29
; NumVGPRsForWavesPerEU: 134
; Occupancy: 7
; WaveLimiterHint : 1
; COMPUTE_PGM_RSRC2:SCRATCH_EN: 0
; COMPUTE_PGM_RSRC2:USER_SGPR: 6
; COMPUTE_PGM_RSRC2:TRAP_HANDLER: 0
; COMPUTE_PGM_RSRC2:TGID_X_EN: 1
; COMPUTE_PGM_RSRC2:TGID_Y_EN: 0
; COMPUTE_PGM_RSRC2:TGID_Z_EN: 0
; COMPUTE_PGM_RSRC2:TIDIG_COMP_CNT: 0
	.text
	.p2alignl 6, 3214868480
	.fill 48, 4, 3214868480
	.type	__hip_cuid_1f75e726032c9534,@object ; @__hip_cuid_1f75e726032c9534
	.section	.bss,"aw",@nobits
	.globl	__hip_cuid_1f75e726032c9534
__hip_cuid_1f75e726032c9534:
	.byte	0                               ; 0x0
	.size	__hip_cuid_1f75e726032c9534, 1

	.ident	"AMD clang version 19.0.0git (https://github.com/RadeonOpenCompute/llvm-project roc-6.4.0 25133 c7fe45cf4b819c5991fe208aaa96edf142730f1d)"
	.section	".note.GNU-stack","",@progbits
	.addrsig
	.addrsig_sym __hip_cuid_1f75e726032c9534
	.amdgpu_metadata
---
amdhsa.kernels:
  - .args:
      - .actual_access:  read_only
        .address_space:  global
        .offset:         0
        .size:           8
        .value_kind:     global_buffer
      - .offset:         8
        .size:           8
        .value_kind:     by_value
      - .actual_access:  read_only
        .address_space:  global
        .offset:         16
        .size:           8
        .value_kind:     global_buffer
      - .actual_access:  read_only
        .address_space:  global
        .offset:         24
        .size:           8
        .value_kind:     global_buffer
      - .actual_access:  read_only
        .address_space:  global
        .offset:         32
        .size:           8
        .value_kind:     global_buffer
      - .offset:         40
        .size:           8
        .value_kind:     by_value
      - .actual_access:  read_only
        .address_space:  global
        .offset:         48
        .size:           8
        .value_kind:     global_buffer
      - .actual_access:  read_only
        .address_space:  global
        .offset:         56
        .size:           8
        .value_kind:     global_buffer
      - .offset:         64
        .size:           4
        .value_kind:     by_value
      - .actual_access:  read_only
        .address_space:  global
        .offset:         72
        .size:           8
        .value_kind:     global_buffer
      - .actual_access:  read_only
        .address_space:  global
        .offset:         80
        .size:           8
        .value_kind:     global_buffer
      - .actual_access:  read_only
        .address_space:  global
        .offset:         88
        .size:           8
        .value_kind:     global_buffer
      - .actual_access:  write_only
        .address_space:  global
        .offset:         96
        .size:           8
        .value_kind:     global_buffer
    .group_segment_fixed_size: 0
    .kernarg_segment_align: 8
    .kernarg_segment_size: 104
    .language:       OpenCL C
    .language_version:
      - 2
      - 0
    .max_flat_workgroup_size: 51
    .name:           fft_rtc_fwd_len612_factors_17_3_6_2_wgs_51_tpt_51_halfLds_half_op_CI_CI_unitstride_sbrr_R2C_dirReg
    .private_segment_fixed_size: 0
    .sgpr_count:     29
    .sgpr_spill_count: 0
    .symbol:         fft_rtc_fwd_len612_factors_17_3_6_2_wgs_51_tpt_51_halfLds_half_op_CI_CI_unitstride_sbrr_R2C_dirReg.kd
    .uniform_work_group_size: 1
    .uses_dynamic_stack: false
    .vgpr_count:     134
    .vgpr_spill_count: 0
    .wavefront_size: 32
    .workgroup_processor_mode: 1
amdhsa.target:   amdgcn-amd-amdhsa--gfx1030
amdhsa.version:
  - 1
  - 2
...

	.end_amdgpu_metadata
